;; amdgpu-corpus repo=ROCm/rocFFT kind=compiled arch=gfx1100 opt=O3
	.text
	.amdgcn_target "amdgcn-amd-amdhsa--gfx1100"
	.amdhsa_code_object_version 6
	.protected	bluestein_single_back_len2160_dim1_sp_op_CI_CI ; -- Begin function bluestein_single_back_len2160_dim1_sp_op_CI_CI
	.globl	bluestein_single_back_len2160_dim1_sp_op_CI_CI
	.p2align	8
	.type	bluestein_single_back_len2160_dim1_sp_op_CI_CI,@function
bluestein_single_back_len2160_dim1_sp_op_CI_CI: ; @bluestein_single_back_len2160_dim1_sp_op_CI_CI
; %bb.0:
	s_load_b128 s[8:11], s[0:1], 0x28
	v_mul_u32_u24_e32 v1, 0x445, v0
	s_mov_b32 s2, exec_lo
	v_mov_b32_e32 v8, 0
	s_delay_alu instid0(VALU_DEP_2) | instskip(NEXT) | instid1(VALU_DEP_1)
	v_lshrrev_b32_e32 v1, 16, v1
	v_add_nc_u32_e32 v7, s15, v1
	s_waitcnt lgkmcnt(0)
	s_delay_alu instid0(VALU_DEP_1)
	v_cmpx_gt_u64_e64 s[8:9], v[7:8]
	s_cbranch_execz .LBB0_15
; %bb.1:
	s_clause 0x1
	s_load_b128 s[4:7], s[0:1], 0x18
	s_load_b64 s[16:17], s[0:1], 0x0
	v_mul_lo_u16 v1, v1, 60
	v_mov_b32_e32 v5, v7
	s_delay_alu instid0(VALU_DEP_2) | instskip(NEXT) | instid1(VALU_DEP_1)
	v_sub_nc_u16 v2, v0, v1
	v_and_b32_e32 v239, 0xffff, v2
	s_delay_alu instid0(VALU_DEP_1)
	v_lshlrev_b32_e32 v255, 3, v239
	v_or_b32_e32 v11, 0x6c0, v239
	v_or_b32_e32 v15, 0x300, v239
	s_waitcnt lgkmcnt(0)
	s_load_b128 s[12:15], s[4:5], 0x0
	s_clause 0x2
	global_load_b64 v[135:136], v255, s[16:17]
	global_load_b64 v[107:108], v255, s[16:17] offset:1728
	global_load_b64 v[127:128], v255, s[16:17] offset:3456
	v_add_co_u32 v68, s2, s16, v255
	s_delay_alu instid0(VALU_DEP_1) | instskip(SKIP_1) | instid1(VALU_DEP_3)
	v_add_co_ci_u32_e64 v69, null, s17, 0, s2
	v_lshlrev_b32_e32 v160, 3, v11
	v_add_co_u32 v62, vcc_lo, 0x1000, v68
	s_delay_alu instid0(VALU_DEP_3)
	v_add_co_ci_u32_e32 v63, vcc_lo, 0, v69, vcc_lo
	v_add_co_u32 v64, vcc_lo, 0x2000, v68
	v_add_co_ci_u32_e32 v65, vcc_lo, 0, v69, vcc_lo
	v_lshlrev_b32_e32 v164, 3, v15
	s_clause 0x2
	global_load_b64 v[115:116], v160, s[16:17]
	global_load_b64 v[85:86], v164, s[16:17]
	global_load_b64 v[97:98], v[62:63], off offset:1088
	s_waitcnt lgkmcnt(0)
	v_mad_u64_u32 v[0:1], null, s14, v7, 0
	global_load_b64 v[129:130], v[62:63], off offset:2816
	v_mad_u64_u32 v[3:4], null, s12, v239, 0
	s_clause 0x2
	global_load_b64 v[83:84], v[64:65], off offset:448
	global_load_b64 v[119:120], v[64:65], off offset:2176
	;; [unrolled: 1-line block ×3, first 2 shown]
	s_clause 0x2
	scratch_store_b64 off, v[5:6], off offset:24
	scratch_store_b32 off, v11, off offset:52
	scratch_store_b32 off, v15, off offset:56
	v_mad_u64_u32 v[5:6], null, s15, v7, v[1:2]
	v_mad_u64_u32 v[6:7], null, s12, v11, 0
	s_mul_i32 s3, s13, 0xd8
	s_mul_hi_u32 s5, s12, 0xd8
	s_mul_i32 s2, s12, 0xd8
	s_mul_hi_u32 s14, s12, 0xfffff8a4
	s_delay_alu instid0(VALU_DEP_2) | instskip(SKIP_4) | instid1(VALU_DEP_2)
	v_mad_u64_u32 v[8:9], null, s13, v239, v[4:5]
	v_mov_b32_e32 v1, v5
	v_mad_u64_u32 v[9:10], null, s12, v15, 0
	s_add_i32 s3, s5, s3
	s_sub_i32 s5, s14, s12
	v_lshlrev_b64 v[0:1], 3, v[0:1]
	s_delay_alu instid0(VALU_DEP_4)
	v_mov_b32_e32 v4, v8
	s_lshl_b64 s[14:15], s[2:3], 3
	s_mul_i32 s9, s13, 0xfffff8a4
	s_mul_i32 s8, s13, 0xd80
	;; [unrolled: 1-line block ×3, first 2 shown]
	v_add_co_u32 v22, vcc_lo, s10, v0
	v_mov_b32_e32 v0, v10
	v_lshlrev_b64 v[3:4], 3, v[3:4]
	v_add_co_ci_u32_e32 v23, vcc_lo, s11, v1, vcc_lo
	s_add_i32 s5, s5, s9
	s_delay_alu instid0(VALU_DEP_3) | instskip(SKIP_1) | instid1(VALU_DEP_4)
	v_mad_u64_u32 v[13:14], null, s13, v15, v[0:1]
	v_mov_b32_e32 v5, v7
	v_add_co_u32 v3, vcc_lo, v22, v3
	v_add_co_ci_u32_e32 v4, vcc_lo, v23, v4, vcc_lo
	s_lshl_b64 s[2:3], s[4:5], 3
	s_delay_alu instid0(VALU_DEP_4) | instskip(SKIP_3) | instid1(VALU_DEP_4)
	v_mov_b32_e32 v10, v13
	v_mad_u64_u32 v[7:8], null, s13, v11, v[5:6]
	v_add_co_u32 v11, vcc_lo, v3, s14
	v_add_co_ci_u32_e32 v12, vcc_lo, s15, v4, vcc_lo
	v_lshlrev_b64 v[9:10], 3, v[9:10]
	s_delay_alu instid0(VALU_DEP_3) | instskip(NEXT) | instid1(VALU_DEP_3)
	v_add_co_u32 v0, vcc_lo, v11, s14
	v_add_co_ci_u32_e32 v1, vcc_lo, s15, v12, vcc_lo
	v_lshlrev_b64 v[5:6], 3, v[6:7]
	s_delay_alu instid0(VALU_DEP_3) | instskip(NEXT) | instid1(VALU_DEP_3)
	v_add_co_u32 v14, vcc_lo, v0, s14
	v_add_co_ci_u32_e32 v15, vcc_lo, s15, v1, vcc_lo
	s_delay_alu instid0(VALU_DEP_2) | instskip(NEXT) | instid1(VALU_DEP_2)
	v_add_co_u32 v16, vcc_lo, v14, s14
	v_add_co_ci_u32_e32 v17, vcc_lo, s15, v15, vcc_lo
	s_delay_alu instid0(VALU_DEP_2) | instskip(NEXT) | instid1(VALU_DEP_2)
	;; [unrolled: 3-line block ×3, first 2 shown]
	v_add_co_u32 v18, vcc_lo, v7, s14
	v_add_co_ci_u32_e32 v19, vcc_lo, s15, v8, vcc_lo
	v_add_co_u32 v5, vcc_lo, v22, v5
	v_add_co_ci_u32_e32 v6, vcc_lo, v23, v6, vcc_lo
	s_delay_alu instid0(VALU_DEP_4) | instskip(NEXT) | instid1(VALU_DEP_4)
	v_add_co_u32 v20, vcc_lo, v18, s14
	v_add_co_ci_u32_e32 v21, vcc_lo, s15, v19, vcc_lo
	v_add_co_u32 v9, vcc_lo, v22, v9
	v_add_co_ci_u32_e32 v10, vcc_lo, v23, v10, vcc_lo
	s_clause 0x5
	global_load_b64 v[24:25], v[5:6], off
	global_load_b64 v[26:27], v[9:10], off
	;; [unrolled: 1-line block ×6, first 2 shown]
	v_mad_u64_u32 v[22:23], null, 0xd80, s12, v[20:21]
	v_add_co_u32 v70, vcc_lo, 0x3000, v68
	v_add_co_ci_u32_e32 v71, vcc_lo, 0, v69, vcc_lo
	s_delay_alu instid0(VALU_DEP_3) | instskip(NEXT) | instid1(VALU_DEP_4)
	v_add_nc_u32_e32 v23, s8, v23
	v_add_co_u32 v0, vcc_lo, v22, s2
	s_waitcnt vmcnt(4)
	v_dual_mul_f32 v75, v24, v116 :: v_dual_mul_f32 v76, v26, v86
	s_waitcnt vmcnt(3)
	v_mul_f32_e32 v72, v29, v136
	v_add_co_ci_u32_e32 v1, vcc_lo, s3, v23, vcc_lo
	v_add_co_u32 v3, vcc_lo, v0, s14
	global_load_b64 v[15:16], v[16:17], off
	global_load_b64 v[32:33], v[7:8], off
	;; [unrolled: 1-line block ×5, first 2 shown]
	v_add_co_ci_u32_e32 v4, vcc_lo, s15, v1, vcc_lo
	global_load_b64 v[21:22], v[0:1], off
	v_add_co_u32 v0, vcc_lo, v3, s14
	v_add_co_ci_u32_e32 v1, vcc_lo, s15, v4, vcc_lo
	global_load_b64 v[79:80], v[70:71], off offset:3264
	v_add_co_u32 v5, vcc_lo, v0, s14
	v_add_co_ci_u32_e32 v6, vcc_lo, s15, v1, vcc_lo
	global_load_b64 v[133:134], v255, s[16:17] offset:480
	global_load_b64 v[36:37], v[3:4], off
	global_load_b64 v[109:110], v255, s[16:17] offset:2208
	global_load_b64 v[38:39], v[0:1], off
	;; [unrolled: 2-line block ×3, first 2 shown]
	v_add_co_u32 v0, vcc_lo, v5, s14
	v_add_co_ci_u32_e32 v1, vcc_lo, s15, v6, vcc_lo
	s_clause 0x3
	global_load_b64 v[105:106], v[62:63], off offset:1568
	global_load_b64 v[125:126], v[62:63], off offset:3296
	;; [unrolled: 1-line block ×4, first 2 shown]
	v_add_co_u32 v3, vcc_lo, v0, s14
	v_add_co_ci_u32_e32 v4, vcc_lo, s15, v1, vcc_lo
	global_load_b64 v[42:43], v[0:1], off
	v_add_co_u32 v0, vcc_lo, v3, s14
	v_add_co_ci_u32_e32 v1, vcc_lo, s15, v4, vcc_lo
	global_load_b64 v[44:45], v[3:4], off
	;; [unrolled: 3-line block ×4, first 2 shown]
	v_add_co_u32 v7, vcc_lo, v3, s14
	v_add_co_ci_u32_e32 v8, vcc_lo, s15, v4, vcc_lo
	global_load_b64 v[87:88], v[70:71], off offset:288
	global_load_b64 v[50:51], v[3:4], off
	global_load_b64 v[121:122], v[70:71], off offset:2016
	v_add_co_u32 v0, vcc_lo, v7, s2
	v_add_co_ci_u32_e32 v1, vcc_lo, s3, v8, vcc_lo
	v_mul_f32_e32 v23, v25, v116
	s_delay_alu instid0(VALU_DEP_3) | instskip(NEXT) | instid1(VALU_DEP_3)
	v_add_co_u32 v9, vcc_lo, v0, s14
	v_add_co_ci_u32_e32 v10, vcc_lo, s15, v1, vcc_lo
	s_delay_alu instid0(VALU_DEP_3) | instskip(NEXT) | instid1(VALU_DEP_3)
	v_fmac_f32_e32 v23, v24, v115
	v_add_co_u32 v5, vcc_lo, v9, s14
	s_delay_alu instid0(VALU_DEP_3)
	v_add_co_ci_u32_e32 v6, vcc_lo, s15, v10, vcc_lo
	global_load_b64 v[52:53], v[7:8], off
	global_load_b64 v[81:82], v[70:71], off offset:3744
	global_load_b64 v[54:55], v[0:1], off
	global_load_b64 v[117:118], v255, s[16:17] offset:960
	global_load_b64 v[56:57], v[9:10], off
	global_load_b64 v[113:114], v255, s[16:17] offset:2688
	global_load_b64 v[58:59], v[5:6], off
	v_add_nc_u32_e32 v10, 0x1400, v255
	s_clause 0x1
	global_load_b64 v[111:112], v[62:63], off offset:320
	global_load_b64 v[103:104], v[62:63], off offset:3776
	v_mad_u64_u32 v[3:4], null, 0xd80, s12, v[5:6]
	scratch_store_b64 off, v[62:63], off offset:16 ; 8-byte Folded Spill
	v_dual_mul_f32 v73, v28, v136 :: v_dual_add_nc_u32 v8, 0x3000, v255
	v_add_nc_u32_e32 v9, 0x2000, v255
	v_fmac_f32_e32 v72, v28, v135
	s_waitcnt vmcnt(35)
	v_mul_f32_e32 v28, v12, v108
	v_add_nc_u32_e32 v4, s8, v4
	v_add_co_u32 v0, vcc_lo, v3, s14
	v_dual_mul_f32 v74, v27, v86 :: v_dual_add_nc_u32 v7, 0x3400, v255
	s_delay_alu instid0(VALU_DEP_3)
	v_add_co_ci_u32_e32 v1, vcc_lo, s15, v4, vcc_lo
	global_load_b64 v[60:61], v[3:4], off
	v_fmac_f32_e32 v74, v26, v85
	v_add_co_u32 v3, vcc_lo, v0, s14
	v_add_co_ci_u32_e32 v4, vcc_lo, s15, v1, vcc_lo
	global_load_b64 v[62:63], v[0:1], off
	global_load_b64 v[99:100], v[64:65], off offset:3136
	v_add_co_u32 v5, vcc_lo, v3, s14
	v_add_co_ci_u32_e32 v6, vcc_lo, s15, v4, vcc_lo
	scratch_store_b64 off, v[64:65], off    ; 8-byte Folded Spill
	global_load_b64 v[101:102], v[64:65], off offset:1408
	global_load_b64 v[64:65], v[3:4], off
	global_load_b64 v[66:67], v[5:6], off
	global_load_b64 v[89:90], v[70:71], off offset:768
	v_add_co_u32 v3, vcc_lo, v5, s14
	v_add_co_ci_u32_e32 v4, vcc_lo, s15, v6, vcc_lo
	v_add_co_u32 v5, vcc_lo, 0x4000, v68
	v_add_co_ci_u32_e32 v6, vcc_lo, 0, v69, vcc_lo
	s_delay_alu instid0(VALU_DEP_4) | instskip(NEXT) | instid1(VALU_DEP_4)
	v_add_co_u32 v0, vcc_lo, v3, s14
	v_add_co_ci_u32_e32 v1, vcc_lo, s15, v4, vcc_lo
	s_clause 0x2
	scratch_store_b64 off, v[68:69], off offset:36
	scratch_store_b64 off, v[5:6], off offset:44
	;; [unrolled: 1-line block ×3, first 2 shown]
	global_load_b64 v[68:69], v[3:4], off
	s_clause 0x1
	global_load_b64 v[91:92], v[5:6], off offset:128
	global_load_b64 v[95:96], v[70:71], off offset:2496
	global_load_b64 v[70:71], v[0:1], off
	v_add_nc_u32_e32 v4, 0x800, v255
	v_add_nc_u32_e32 v6, 0x1800, v255
	v_fma_f32 v73, v29, v135, -v73
	v_mul_f32_e32 v29, v11, v108
	v_add_nc_u32_e32 v5, 0x2800, v255
	v_fma_f32 v24, v25, v115, -v75
	s_waitcnt vmcnt(45)
	v_mul_f32_e32 v25, v31, v128
	v_add_nc_u32_e32 v3, 0xc00, v255
	v_fma_f32 v29, v12, v107, -v29
	v_mul_f32_e32 v12, v30, v128
	v_fma_f32 v75, v27, v85, -v76
	s_waitcnt vmcnt(44)
	v_dual_mul_f32 v27, v13, v98 :: v_dual_fmac_f32 v28, v11, v107
	v_mul_f32_e32 v11, v14, v98
	v_fmac_f32_e32 v25, v30, v127
	v_fma_f32 v26, v31, v127, -v12
	s_delay_alu instid0(VALU_DEP_4)
	v_fma_f32 v12, v14, v97, -v27
	s_load_b64 s[8:9], s[0:1], 0x38
	s_load_b128 s[4:7], s[6:7], 0x0
	s_clause 0x6
	scratch_store_b64 off, v[85:86], off offset:92
	scratch_store_b64 off, v[97:98], off offset:140
	scratch_store_b64 off, v[115:116], off offset:212
	scratch_store_b64 off, v[107:108], off offset:180
	scratch_store_b64 off, v[127:128], off offset:260
	scratch_store_b64 off, v[129:130], off offset:268
	scratch_store_b64 off, v[135:136], off offset:292
	v_cmp_gt_u16_e32 vcc_lo, 36, v2
	s_waitcnt vmcnt(43)
	v_dual_fmac_f32 v11, v13, v97 :: v_dual_mul_f32 v30, v16, v130
	s_waitcnt vmcnt(42)
	v_dual_mul_f32 v76, v15, v130 :: v_dual_mul_f32 v13, v33, v84
	s_delay_alu instid0(VALU_DEP_2) | instskip(NEXT) | instid1(VALU_DEP_2)
	v_fmac_f32_e32 v30, v15, v129
	v_fma_f32 v31, v16, v129, -v76
	ds_store_b64 v255, v[28:29] offset:1728
	ds_store_b64 v255, v[25:26] offset:3456
	ds_store_b64 v255, v[11:12] offset:5184
	ds_store_b64 v255, v[30:31] offset:6912
	s_waitcnt vmcnt(40)
	v_dual_mul_f32 v11, v18, v120 :: v_dual_mul_f32 v16, v19, v78
	v_mul_f32_e32 v14, v32, v84
	v_dual_mul_f32 v12, v17, v120 :: v_dual_fmac_f32 v13, v32, v83
	v_mul_f32_e32 v15, v20, v78
	s_delay_alu instid0(VALU_DEP_4) | instskip(NEXT) | instid1(VALU_DEP_4)
	v_fmac_f32_e32 v11, v17, v119
	v_fma_f32 v14, v33, v83, -v14
	s_delay_alu instid0(VALU_DEP_4)
	v_fma_f32 v12, v18, v119, -v12
	s_waitcnt vmcnt(37)
	v_dual_mul_f32 v18, v34, v80 :: v_dual_fmac_f32 v15, v19, v77
	v_fma_f32 v16, v20, v77, -v16
	scratch_store_b64 off, v[119:120], off offset:228 ; 8-byte Folded Spill
	v_mul_f32_e32 v17, v35, v80
	s_clause 0x2
	scratch_store_b64 off, v[77:78], off offset:60
	scratch_store_b64 off, v[79:80], off offset:68
	scratch_store_b64 off, v[83:84], off offset:84
	s_waitcnt vmcnt(36)
	scratch_store_b64 off, v[133:134], off offset:284 ; 8-byte Folded Spill
	ds_store_b64 v255, v[13:14] offset:8640
	ds_store_b64 v255, v[11:12] offset:10368
	;; [unrolled: 1-line block ×4, first 2 shown]
	s_waitcnt vmcnt(30)
	v_mul_f32_e32 v15, v41, v106
	v_mul_f32_e32 v16, v40, v106
	;; [unrolled: 1-line block ×3, first 2 shown]
	v_dual_mul_f32 v25, v21, v134 :: v_dual_mul_f32 v14, v38, v132
	v_fmac_f32_e32 v17, v34, v79
	v_fma_f32 v18, v35, v79, -v18
	v_mul_f32_e32 v11, v37, v110
	v_fma_f32 v16, v41, v105, -v16
	v_fma_f32 v20, v22, v133, -v25
	v_dual_mul_f32 v13, v39, v132 :: v_dual_mul_f32 v12, v36, v110
	v_fma_f32 v14, v39, v131, -v14
	s_delay_alu instid0(VALU_DEP_2)
	v_fma_f32 v12, v37, v109, -v12
	s_waitcnt vmcnt(22)
	v_dual_mul_f32 v24, v48, v88 :: v_dual_fmac_f32 v19, v21, v133
	ds_store_b64 v255, v[17:18] offset:15552
	ds_store_2addr_b64 v255, v[72:73], v[19:20] offset1:60
	v_mul_f32_e32 v18, v42, v126
	scratch_store_b64 off, v[109:110], off offset:188 ; 8-byte Folded Spill
	v_mul_f32_e32 v17, v43, v126
	s_clause 0x2
	scratch_store_b64 off, v[131:132], off offset:276
	scratch_store_b64 off, v[125:126], off offset:252
	;; [unrolled: 1-line block ×3, first 2 shown]
	s_waitcnt vmcnt(18)
	v_dual_mul_f32 v26, v52, v82 :: v_dual_fmac_f32 v13, v38, v131
	s_waitcnt vmcnt(16)
	v_mul_f32_e32 v27, v55, v118
	v_mul_f32_e32 v28, v54, v118
	s_waitcnt vmcnt(14)
	v_mul_f32_e32 v30, v56, v114
	v_mul_f32_e32 v29, v57, v114
	s_clause 0x3
	scratch_store_b64 off, v[105:106], off offset:172
	scratch_store_b64 off, v[93:94], off offset:124
	scratch_store_b64 off, v[87:88], off offset:100
	scratch_store_b64 off, v[81:82], off offset:76
	s_waitcnt vmcnt(12)
	v_dual_mul_f32 v32, v58, v112 :: v_dual_fmac_f32 v15, v40, v105
	v_fmac_f32_e32 v27, v54, v117
	v_fma_f32 v28, v55, v117, -v28
	v_fmac_f32_e32 v29, v56, v113
	v_fma_f32 v30, v57, v113, -v30
	ds_store_2addr_b64 v10, v[15:16], v[74:75] offset0:68 offset1:128
	v_dual_mul_f32 v16, v46, v124 :: v_dual_fmac_f32 v11, v36, v109
	v_mul_f32_e32 v31, v59, v112
	s_clause 0x2
	scratch_store_b64 off, v[121:122], off offset:236
	scratch_store_b64 off, v[117:118], off offset:220
	;; [unrolled: 1-line block ×3, first 2 shown]
	ds_store_b64 v255, v[27:28] offset:960
	ds_store_2addr_b64 v4, v[11:12], v[29:30] offset0:20 offset1:80
	s_waitcnt vmcnt(10)
	v_mul_f32_e32 v11, v61, v104
	v_dual_mul_f32 v12, v60, v104 :: v_dual_fmac_f32 v31, v58, v111
	v_fma_f32 v32, v59, v111, -v32
	v_fmac_f32_e32 v17, v42, v125
	v_mul_f32_e32 v19, v45, v94
	v_mul_f32_e32 v20, v44, v94
	v_fma_f32 v18, v43, v125, -v18
	v_fmac_f32_e32 v11, v60, v103
	s_waitcnt vmcnt(7)
	v_mul_f32_e32 v27, v63, v102
	v_mul_f32_e32 v28, v62, v102
	v_fma_f32 v12, v61, v103, -v12
	ds_store_2addr_b64 v3, v[13:14], v[31:32] offset0:108 offset1:168
	s_waitcnt vmcnt(6)
	v_mul_f32_e32 v3, v64, v100
	v_fma_f32 v20, v45, v93, -v20
	v_fmac_f32_e32 v27, v62, v101
	v_fma_f32 v28, v63, v101, -v28
	ds_store_2addr_b64 v6, v[17:18], v[11:12] offset0:156 offset1:216
	v_mul_f32_e32 v25, v50, v122
	v_mul_f32_e32 v21, v47, v124
	v_mul_f32_e32 v13, v65, v100
	v_mul_f32_e32 v15, v49, v88
	s_waitcnt vmcnt(4)
	v_mul_f32_e32 v17, v67, v90
	v_fma_f32 v14, v65, v99, -v3
	v_mul_f32_e32 v3, v66, v90
	v_mul_f32_e32 v23, v51, v122
	v_fma_f32 v22, v47, v123, -v16
	v_fma_f32 v16, v49, v87, -v24
	;; [unrolled: 1-line block ×3, first 2 shown]
	s_waitcnt vmcnt(1)
	v_mul_f32_e32 v11, v68, v96
	s_waitcnt vmcnt(0)
	v_dual_mul_f32 v12, v70, v92 :: v_dual_fmac_f32 v19, v44, v93
	v_mul_f32_e32 v25, v53, v82
	v_fmac_f32_e32 v21, v46, v123
	v_fmac_f32_e32 v13, v64, v99
	;; [unrolled: 1-line block ×3, first 2 shown]
	ds_store_2addr_b64 v9, v[19:20], v[27:28] offset0:116 offset1:176
	v_mul_f32_e32 v19, v69, v96
	v_mul_f32_e32 v27, v71, v92
	v_fma_f32 v20, v69, v95, -v11
	v_add_nc_u32_e32 v11, 0x3c00, v255
	v_fmac_f32_e32 v17, v66, v89
	v_fma_f32 v18, v67, v89, -v3
	v_fmac_f32_e32 v23, v50, v121
	v_fmac_f32_e32 v19, v68, v95
	;; [unrolled: 1-line block ×3, first 2 shown]
	v_fma_f32 v26, v53, v81, -v26
	v_fmac_f32_e32 v27, v70, v91
	v_fma_f32 v28, v71, v91, -v12
	s_clause 0x6
	scratch_store_b64 off, v[111:112], off offset:196
	scratch_store_b64 off, v[103:104], off offset:164
	;; [unrolled: 1-line block ×7, first 2 shown]
	ds_store_2addr_b64 v5, v[21:22], v[13:14] offset0:76 offset1:136
	ds_store_2addr_b64 v8, v[15:16], v[17:18] offset0:36 offset1:96
	;; [unrolled: 1-line block ×4, first 2 shown]
	s_and_saveexec_b32 s10, vcc_lo
	s_cbranch_execz .LBB0_3
; %bb.2:
	v_add_co_u32 v0, s2, v0, s2
	s_delay_alu instid0(VALU_DEP_1) | instskip(NEXT) | instid1(VALU_DEP_2)
	v_add_co_ci_u32_e64 v1, s2, s3, v1, s2
	v_add_co_u32 v2, s2, v0, s14
	s_delay_alu instid0(VALU_DEP_1) | instskip(NEXT) | instid1(VALU_DEP_2)
	v_add_co_ci_u32_e64 v3, s2, s15, v1, s2
	v_add_co_u32 v12, s2, v2, s14
	s_delay_alu instid0(VALU_DEP_1)
	v_add_co_ci_u32_e64 v13, s2, s15, v3, s2
	global_load_b64 v[0:1], v[0:1], off
	global_load_b64 v[2:3], v[2:3], off
	scratch_load_b64 v[16:17], off, off offset:36 ; 8-byte Folded Reload
	s_waitcnt vmcnt(0)
	s_clause 0x1
	global_load_b64 v[14:15], v[16:17], off offset:1440
	global_load_b64 v[16:17], v[16:17], off offset:3168
	global_load_b64 v[18:19], v[12:13], off
	scratch_load_b64 v[28:29], off, off offset:16 ; 8-byte Folded Reload
	v_add_co_u32 v12, s2, v12, s14
	s_delay_alu instid0(VALU_DEP_1) | instskip(SKIP_1) | instid1(VALU_DEP_3)
	v_add_co_ci_u32_e64 v13, s2, s15, v13, s2
	v_add_nc_u32_e32 v50, 0x1200, v255
	v_add_co_u32 v22, s2, v12, s14
	s_delay_alu instid0(VALU_DEP_1) | instskip(SKIP_2) | instid1(VALU_DEP_1)
	v_add_co_ci_u32_e64 v23, s2, s15, v13, s2
	global_load_b64 v[12:13], v[12:13], off
	v_add_co_u32 v24, s2, v22, s14
	v_add_co_ci_u32_e64 v25, s2, s15, v23, s2
	global_load_b64 v[22:23], v[22:23], off
	v_add_co_u32 v26, s2, v24, s14
	s_delay_alu instid0(VALU_DEP_1) | instskip(NEXT) | instid1(VALU_DEP_2)
	v_add_co_ci_u32_e64 v27, s2, s15, v25, s2
	v_add_co_u32 v32, s2, v26, s14
	s_delay_alu instid0(VALU_DEP_1)
	v_add_co_ci_u32_e64 v33, s2, s15, v27, s2
	s_waitcnt vmcnt(5)
	v_mul_f32_e32 v48, v1, v15
	s_waitcnt vmcnt(2)
	s_clause 0x1
	global_load_b64 v[20:21], v[28:29], off offset:800
	global_load_b64 v[28:29], v[28:29], off offset:2528
	scratch_load_b64 v[36:37], off, off     ; 8-byte Folded Reload
	v_add_nc_u32_e32 v51, 0x2e00, v255
	v_mul_f32_e32 v49, v0, v15
	v_mul_f32_e32 v15, v3, v17
	;; [unrolled: 1-line block ×3, first 2 shown]
	v_dual_fmac_f32 v48, v0, v14 :: v_dual_add_nc_u32 v7, 0x500, v255
	s_delay_alu instid0(VALU_DEP_3) | instskip(NEXT) | instid1(VALU_DEP_3)
	v_fmac_f32_e32 v15, v2, v16
	v_fma_f32 v16, v3, v16, -v17
	s_waitcnt vmcnt(1)
	v_mul_f32_e32 v2, v13, v29
	s_waitcnt vmcnt(0)
	global_load_b64 v[30:31], v[36:37], off offset:160
	global_load_b64 v[24:25], v[24:25], off
	global_load_b64 v[34:35], v[36:37], off offset:1888
	global_load_b64 v[26:27], v[26:27], off
	;; [unrolled: 2-line block ×3, first 2 shown]
	scratch_load_b64 v[44:45], off, off offset:8 ; 8-byte Folded Reload
	v_add_co_u32 v32, s2, v32, s14
	s_delay_alu instid0(VALU_DEP_1) | instskip(SKIP_1) | instid1(VALU_DEP_3)
	v_add_co_ci_u32_e64 v33, s2, s15, v33, s2
	v_mul_f32_e32 v0, v19, v21
	v_add_co_u32 v42, s2, v32, s14
	s_delay_alu instid0(VALU_DEP_1) | instskip(NEXT) | instid1(VALU_DEP_3)
	v_add_co_ci_u32_e64 v43, s2, s15, v33, s2
	v_fmac_f32_e32 v0, v18, v20
	v_fma_f32 v49, v1, v14, -v49
	v_mul_f32_e32 v3, v12, v29
	v_dual_mul_f32 v1, v18, v21 :: v_dual_fmac_f32 v2, v12, v28
	s_delay_alu instid0(VALU_DEP_1)
	v_fma_f32 v1, v19, v20, -v1
	s_waitcnt vmcnt(4)
	v_mul_f32_e32 v12, v25, v35
	v_mul_f32_e32 v14, v22, v31
	;; [unrolled: 1-line block ×3, first 2 shown]
	s_waitcnt vmcnt(0)
	global_load_b64 v[40:41], v[44:45], off offset:1248
	global_load_b64 v[32:33], v[32:33], off
	global_load_b64 v[44:45], v[44:45], off offset:2976
	scratch_load_b64 v[46:47], off, off offset:44 ; 8-byte Folded Reload
	v_fma_f32 v3, v13, v28, -v3
	v_fma_f32 v18, v23, v30, -v14
	v_mul_f32_e32 v14, v26, v37
	v_fmac_f32_e32 v17, v22, v30
	v_mul_f32_e32 v13, v24, v35
	v_dual_mul_f32 v19, v27, v37 :: v_dual_fmac_f32 v12, v24, v34
	s_delay_alu instid0(VALU_DEP_4)
	v_fma_f32 v20, v27, v36, -v14
	s_waitcnt vmcnt(0)
	global_load_b64 v[46:47], v[46:47], off offset:608
	global_load_b64 v[42:43], v[42:43], off
	v_mul_f32_e32 v21, v39, v41
	v_mul_f32_e32 v14, v38, v41
	v_fma_f32 v13, v25, v34, -v13
	v_dual_fmac_f32 v19, v26, v36 :: v_dual_mul_f32 v24, v32, v45
	v_mul_f32_e32 v23, v33, v45
	s_delay_alu instid0(VALU_DEP_4) | instskip(SKIP_1) | instid1(VALU_DEP_4)
	v_fma_f32 v22, v39, v40, -v14
	v_add_nc_u32_e32 v14, 0x3b00, v255
	v_fma_f32 v24, v33, v44, -v24
	s_delay_alu instid0(VALU_DEP_4) | instskip(SKIP_4) | instid1(VALU_DEP_3)
	v_fmac_f32_e32 v23, v32, v44
	s_waitcnt vmcnt(0)
	v_mul_f32_e32 v25, v43, v47
	v_mul_f32_e32 v26, v42, v47
	v_fmac_f32_e32 v21, v38, v40
	v_fmac_f32_e32 v25, v42, v46
	s_delay_alu instid0(VALU_DEP_3)
	v_fma_f32 v26, v43, v46, -v26
	ds_store_2addr_b64 v7, v[48:49], v[15:16] offset0:20 offset1:236
	ds_store_2addr_b64 v50, v[0:1], v[2:3] offset0:36 offset1:252
	;; [unrolled: 1-line block ×5, first 2 shown]
.LBB0_3:
	s_or_b32 exec_lo, exec_lo, s10
	v_add_nc_u32_e32 v7, 0x1000, v255
	v_add_nc_u32_e32 v12, 0x1c00, v255
	s_waitcnt lgkmcnt(0)
	s_waitcnt_vscnt null, 0x0
	s_barrier
	buffer_gl0_inv
	ds_load_2addr_b64 v[80:83], v255 offset1:60
	ds_load_2addr_b64 v[0:3], v255 offset0:120 offset1:216
	ds_load_2addr_b64 v[84:87], v4 offset0:176 offset1:236
	;; [unrolled: 1-line block ×4, first 2 shown]
	v_add_nc_u32_e32 v6, 0x3800, v255
	ds_load_2addr_b64 v[68:71], v12 offset0:88 offset1:184
	ds_load_2addr_b64 v[92:95], v5 offset0:16 offset1:76
	;; [unrolled: 1-line block ×10, first 2 shown]
	s_load_b64 s[0:1], s[0:1], 0x8
                                        ; implicit-def: $vgpr8
                                        ; implicit-def: $vgpr12
                                        ; implicit-def: $vgpr16
                                        ; implicit-def: $vgpr20
                                        ; implicit-def: $vgpr24
	s_and_saveexec_b32 s2, vcc_lo
	s_cbranch_execz .LBB0_5
; %bb.4:
	v_add_nc_u32_e32 v8, 0x500, v255
	v_add_nc_u32_e32 v12, 0x1200, v255
	v_add_nc_u32_e32 v16, 0x2000, v255
	v_add_nc_u32_e32 v20, 0x2e00, v255
	v_add_nc_u32_e32 v24, 0x3b00, v255
	ds_load_2addr_b64 v[8:11], v8 offset0:20 offset1:236
	ds_load_2addr_b64 v[12:15], v12 offset0:36 offset1:252
	;; [unrolled: 1-line block ×5, first 2 shown]
.LBB0_5:
	s_or_b32 exec_lo, exec_lo, s2
	s_waitcnt lgkmcnt(0)
	v_dual_add_f32 v41, v80, v84 :: v_dual_sub_f32 v42, v85, v97
	v_dual_sub_f32 v49, v84, v88 :: v_dual_add_f32 v54, v89, v93
	v_sub_f32_e32 v50, v96, v92
	v_add_f32_e32 v40, v88, v92
	v_add_co_u32 v148, s2, v239, 60
	v_add_f32_e32 v51, v84, v96
	s_delay_alu instid0(VALU_DEP_4) | instskip(NEXT) | instid1(VALU_DEP_4)
	v_add_f32_e32 v49, v49, v50
	v_fma_f32 v43, -0.5, v40, v80
	v_add_co_ci_u32_e64 v40, null, 0, 0, s2
	v_sub_f32_e32 v40, v89, v93
	s_delay_alu instid0(VALU_DEP_3) | instskip(SKIP_3) | instid1(VALU_DEP_4)
	v_dual_add_f32 v41, v41, v88 :: v_dual_fmamk_f32 v48, v42, 0x3f737871, v43
	v_fma_f32 v51, -0.5, v51, v80
	v_fmac_f32_e32 v43, 0xbf737871, v42
	v_dual_add_f32 v53, v81, v85 :: v_dual_sub_f32 v52, v92, v96
	v_fmac_f32_e32 v48, 0x3f167918, v40
	v_add_f32_e32 v41, v41, v92
	s_delay_alu instid0(VALU_DEP_4)
	v_fmac_f32_e32 v43, 0xbf167918, v40
	v_fma_f32 v63, -0.5, v54, v81
	v_add_co_u32 v100, null, 0x78, v239
	v_fmac_f32_e32 v48, 0x3e9e377a, v49
	v_add_f32_e32 v50, v41, v96
	v_sub_f32_e32 v41, v88, v84
	v_fmamk_f32 v60, v40, 0xbf737871, v51
	v_dual_fmac_f32 v51, 0x3f737871, v40 :: v_dual_add_f32 v40, v53, v89
	v_fmac_f32_e32 v43, 0x3e9e377a, v49
	v_sub_f32_e32 v53, v88, v92
	v_sub_f32_e32 v55, v97, v93
	v_add_co_u32 v101, null, 0xb4, v239
	v_dual_add_f32 v40, v40, v93 :: v_dual_fmac_f32 v51, 0xbf167918, v42
	v_dual_add_f32 v41, v41, v52 :: v_dual_fmac_f32 v60, 0x3f167918, v42
	v_sub_f32_e32 v52, v84, v96
	v_add_f32_e32 v42, v85, v97
	v_sub_f32_e32 v54, v85, v89
	s_delay_alu instid0(VALU_DEP_4) | instskip(NEXT) | instid1(VALU_DEP_4)
	v_fmac_f32_e32 v60, 0x3e9e377a, v41
	v_fmamk_f32 v49, v52, 0xbf737871, v63
	s_delay_alu instid0(VALU_DEP_4) | instskip(SKIP_2) | instid1(VALU_DEP_4)
	v_fma_f32 v61, -0.5, v42, v81
	v_dual_add_f32 v80, v40, v97 :: v_dual_fmac_f32 v63, 0x3f737871, v52
	v_dual_fmac_f32 v51, 0x3e9e377a, v41 :: v_dual_add_f32 v40, v54, v55
	v_dual_fmac_f32 v49, 0xbf167918, v53 :: v_dual_add_f32 v54, v2, v66
	v_sub_f32_e32 v41, v89, v85
	v_sub_f32_e32 v42, v93, v97
	v_fmamk_f32 v81, v53, 0x3f737871, v61
	s_delay_alu instid0(VALU_DEP_4) | instskip(SKIP_1) | instid1(VALU_DEP_3)
	v_dual_fmac_f32 v49, 0x3e9e377a, v40 :: v_dual_sub_f32 v56, v70, v66
	s_barrier
	v_add_f32_e32 v41, v41, v42
	v_dual_add_f32 v42, v54, v70 :: v_dual_fmac_f32 v63, 0x3f167918, v53
	v_dual_fmac_f32 v81, 0xbf167918, v52 :: v_dual_sub_f32 v54, v78, v74
	buffer_gl0_inv
	v_dual_sub_f32 v58, v71, v67 :: v_dual_fmac_f32 v63, 0x3e9e377a, v40
	v_dual_add_f32 v40, v42, v74 :: v_dual_fmac_f32 v61, 0xbf737871, v53
	v_sub_f32_e32 v84, v99, v95
	v_sub_f32_e32 v88, v32, v28
	s_delay_alu instid0(VALU_DEP_3) | instskip(SKIP_3) | instid1(VALU_DEP_2)
	v_dual_add_f32 v62, v40, v78 :: v_dual_fmac_f32 v61, 0x3f167918, v52
	v_add_f32_e32 v52, v66, v78
	v_dual_sub_f32 v40, v71, v75 :: v_dual_add_f32 v53, v70, v74
	v_fmac_f32_e32 v81, 0x3e9e377a, v41
	v_fma_f32 v42, -0.5, v53, v2
	s_delay_alu instid0(VALU_DEP_4) | instskip(SKIP_2) | instid1(VALU_DEP_3)
	v_fma_f32 v2, -0.5, v52, v2
	v_dual_sub_f32 v52, v66, v70 :: v_dual_sub_f32 v53, v67, v79
	v_sub_f32_e32 v57, v74, v78
	v_fmamk_f32 v55, v40, 0xbf737871, v2
	s_delay_alu instid0(VALU_DEP_3) | instskip(SKIP_1) | instid1(VALU_DEP_4)
	v_dual_add_f32 v52, v52, v54 :: v_dual_fmac_f32 v61, 0x3e9e377a, v41
	v_fmac_f32_e32 v2, 0x3f737871, v40
	v_dual_fmamk_f32 v41, v53, 0x3f737871, v42 :: v_dual_add_f32 v54, v56, v57
	v_fmac_f32_e32 v42, 0xbf737871, v53
	v_dual_fmac_f32 v55, 0x3f167918, v53 :: v_dual_sub_f32 v56, v66, v78
	s_delay_alu instid0(VALU_DEP_3) | instskip(SKIP_1) | instid1(VALU_DEP_4)
	v_fmac_f32_e32 v41, 0x3f167918, v40
	v_dual_fmac_f32 v2, 0xbf167918, v53 :: v_dual_sub_f32 v57, v70, v74
	v_dual_add_f32 v53, v3, v67 :: v_dual_fmac_f32 v42, 0xbf167918, v40
	s_delay_alu instid0(VALU_DEP_2) | instskip(SKIP_1) | instid1(VALU_DEP_3)
	v_dual_fmac_f32 v41, 0x3e9e377a, v52 :: v_dual_fmac_f32 v2, 0x3e9e377a, v54
	v_dual_add_f32 v40, v71, v75 :: v_dual_fmac_f32 v55, 0x3e9e377a, v54
	v_fmac_f32_e32 v42, 0x3e9e377a, v52
	v_add_f32_e32 v52, v67, v79
	v_sub_f32_e32 v54, v67, v71
	s_delay_alu instid0(VALU_DEP_4) | instskip(NEXT) | instid1(VALU_DEP_3)
	v_fma_f32 v40, -0.5, v40, v3
	v_fma_f32 v3, -0.5, v52, v3
	s_delay_alu instid0(VALU_DEP_2) | instskip(NEXT) | instid1(VALU_DEP_2)
	v_dual_add_f32 v52, v53, v71 :: v_dual_fmamk_f32 v53, v56, 0xbf737871, v40
	v_dual_sub_f32 v66, v75, v79 :: v_dual_fmamk_f32 v59, v57, 0x3f737871, v3
	s_delay_alu instid0(VALU_DEP_2) | instskip(NEXT) | instid1(VALU_DEP_2)
	v_dual_add_f32 v52, v52, v75 :: v_dual_fmac_f32 v53, 0xbf167918, v57
	v_dual_sub_f32 v67, v79, v75 :: v_dual_add_f32 v58, v58, v66
	s_delay_alu instid0(VALU_DEP_3) | instskip(NEXT) | instid1(VALU_DEP_3)
	v_fmac_f32_e32 v59, 0xbf167918, v56
	v_dual_fmac_f32 v3, 0xbf737871, v57 :: v_dual_add_f32 v70, v52, v79
	s_delay_alu instid0(VALU_DEP_3) | instskip(SKIP_1) | instid1(VALU_DEP_4)
	v_add_f32_e32 v54, v54, v67
	v_mul_f32_e32 v66, 0x3f4f1bbd, v41
	v_fmac_f32_e32 v59, 0x3e9e377a, v58
	v_fmac_f32_e32 v40, 0x3f737871, v56
	v_dual_add_f32 v52, v50, v62 :: v_dual_mul_f32 v75, 0xbf167918, v41
	s_delay_alu instid0(VALU_DEP_3) | instskip(NEXT) | instid1(VALU_DEP_3)
	v_mul_f32_e32 v67, 0x3f737871, v59
	v_dual_fmac_f32 v3, 0x3f167918, v56 :: v_dual_fmac_f32 v40, 0x3f167918, v57
	v_mul_f32_e32 v56, 0x3e9e377a, v2
	v_mul_f32_e32 v57, 0x3f4f1bbd, v42
	s_delay_alu instid0(VALU_DEP_4) | instskip(NEXT) | instid1(VALU_DEP_4)
	v_fmac_f32_e32 v67, 0x3e9e377a, v55
	v_fmac_f32_e32 v3, 0x3e9e377a, v58
	;; [unrolled: 1-line block ×3, first 2 shown]
	s_delay_alu instid0(VALU_DEP_2) | instskip(NEXT) | instid1(VALU_DEP_4)
	v_fma_f32 v71, 0x3f737871, v3, -v56
	v_add_f32_e32 v56, v60, v67
	s_delay_alu instid0(VALU_DEP_3) | instskip(SKIP_1) | instid1(VALU_DEP_4)
	v_fmac_f32_e32 v66, 0x3f167918, v53
	v_fmac_f32_e32 v75, 0x3f4f1bbd, v53
	v_dual_add_f32 v53, v80, v70 :: v_dual_add_f32 v58, v51, v71
	v_dual_fmac_f32 v40, 0x3e9e377a, v54 :: v_dual_mul_f32 v3, 0x3e9e377a, v3
	s_delay_alu instid0(VALU_DEP_4) | instskip(SKIP_1) | instid1(VALU_DEP_3)
	v_add_f32_e32 v54, v48, v66
	v_sub_f32_e32 v48, v48, v66
	v_dual_add_f32 v66, v90, v94 :: v_dual_mul_f32 v41, 0x3f4f1bbd, v40
	s_delay_alu instid0(VALU_DEP_4) | instskip(SKIP_2) | instid1(VALU_DEP_4)
	v_fma_f32 v2, 0xbf737871, v2, -v3
	v_mul_f32_e32 v78, 0xbf737871, v55
	v_fma_f32 v74, 0x3f167918, v40, -v57
	v_fma_f32 v3, 0xbf167918, v42, -v41
	v_sub_f32_e32 v42, v50, v62
	s_delay_alu instid0(VALU_DEP_4)
	v_fmac_f32_e32 v78, 0x3e9e377a, v59
	v_sub_f32_e32 v50, v60, v67
	v_sub_f32_e32 v60, v51, v71
	v_add_f32_e32 v41, v63, v3
	v_add_f32_e32 v67, v82, v86
	;; [unrolled: 1-line block ×3, first 2 shown]
	v_sub_f32_e32 v71, v87, v99
	v_fma_f32 v66, -0.5, v66, v82
	v_dual_add_f32 v40, v43, v74 :: v_dual_add_f32 v55, v49, v75
	v_dual_sub_f32 v62, v43, v74 :: v_dual_sub_f32 v49, v49, v75
	s_delay_alu instid0(VALU_DEP_3)
	v_dual_sub_f32 v43, v80, v70 :: v_dual_fmamk_f32 v70, v71, 0x3f737871, v66
	v_sub_f32_e32 v51, v81, v78
	v_dual_add_f32 v67, v67, v90 :: v_dual_fmac_f32 v66, 0xbf737871, v71
	v_dual_sub_f32 v74, v91, v95 :: v_dual_sub_f32 v75, v86, v90
	v_dual_sub_f32 v78, v98, v94 :: v_dual_sub_f32 v63, v63, v3
	v_add_f32_e32 v59, v61, v2
	v_dual_sub_f32 v61, v61, v2 :: v_dual_add_f32 v80, v83, v87
	v_add_f32_e32 v2, v67, v94
	v_dual_fmac_f32 v70, 0x3f167918, v74 :: v_dual_add_f32 v81, v91, v95
	v_add_f32_e32 v67, v75, v78
	v_add_f32_e32 v79, v86, v98
	v_fmac_f32_e32 v66, 0xbf167918, v74
	s_delay_alu instid0(VALU_DEP_3) | instskip(NEXT) | instid1(VALU_DEP_3)
	v_fmac_f32_e32 v70, 0x3e9e377a, v67
	v_fma_f32 v75, -0.5, v79, v82
	v_sub_f32_e32 v79, v94, v98
	v_fma_f32 v82, -0.5, v81, v83
	v_sub_f32_e32 v81, v87, v91
	s_delay_alu instid0(VALU_DEP_4)
	v_fmamk_f32 v3, v74, 0xbf737871, v75
	v_fmac_f32_e32 v75, 0x3f737871, v74
	v_sub_f32_e32 v78, v90, v86
	v_add_f32_e32 v2, v2, v98
	v_add_f32_e32 v74, v80, v91
	v_fmac_f32_e32 v3, 0x3f167918, v71
	v_fmac_f32_e32 v75, 0xbf167918, v71
	v_add_f32_e32 v78, v78, v79
	v_dual_sub_f32 v79, v86, v98 :: v_dual_fmac_f32 v66, 0x3e9e377a, v67
	v_add_f32_e32 v67, v74, v95
	s_delay_alu instid0(VALU_DEP_3) | instskip(NEXT) | instid1(VALU_DEP_3)
	v_dual_add_f32 v74, v87, v99 :: v_dual_fmac_f32 v3, 0x3e9e377a, v78
	v_dual_fmamk_f32 v71, v79, 0xbf737871, v82 :: v_dual_sub_f32 v80, v90, v94
	v_fmac_f32_e32 v75, 0x3e9e377a, v78
	s_delay_alu instid0(VALU_DEP_3) | instskip(SKIP_1) | instid1(VALU_DEP_4)
	v_dual_fmac_f32 v83, -0.5, v74 :: v_dual_fmac_f32 v82, 0x3f737871, v79
	v_add_f32_e32 v74, v81, v84
	v_dual_fmac_f32 v71, 0xbf167918, v80 :: v_dual_sub_f32 v78, v91, v87
	v_dual_add_f32 v84, v4, v36 :: v_dual_sub_f32 v81, v95, v99
	s_delay_alu instid0(VALU_DEP_4) | instskip(SKIP_2) | instid1(VALU_DEP_4)
	v_dual_add_f32 v67, v67, v99 :: v_dual_fmac_f32 v82, 0x3f167918, v80
	v_fmamk_f32 v97, v80, 0x3f737871, v83
	v_fmac_f32_e32 v83, 0xbf737871, v80
	v_add_f32_e32 v80, v84, v44
	v_dual_add_f32 v78, v78, v81 :: v_dual_add_f32 v81, v44, v32
	v_fmac_f32_e32 v82, 0x3e9e377a, v74
	s_delay_alu instid0(VALU_DEP_3) | instskip(SKIP_4) | instid1(VALU_DEP_4)
	v_dual_fmac_f32 v71, 0x3e9e377a, v74 :: v_dual_add_f32 v74, v80, v32
	v_dual_fmac_f32 v97, 0xbf167918, v79 :: v_dual_add_f32 v80, v36, v28
	v_fmac_f32_e32 v83, 0x3f167918, v79
	v_fma_f32 v79, -0.5, v81, v4
	v_dual_sub_f32 v81, v37, v29 :: v_dual_sub_f32 v84, v28, v32
	v_dual_fmac_f32 v97, 0x3e9e377a, v78 :: v_dual_add_f32 v74, v74, v28
	v_fma_f32 v4, -0.5, v80, v4
	s_delay_alu instid0(VALU_DEP_3) | instskip(SKIP_2) | instid1(VALU_DEP_3)
	v_dual_fmamk_f32 v85, v81, 0x3f737871, v79 :: v_dual_sub_f32 v80, v36, v44
	v_dual_fmac_f32 v83, 0x3e9e377a, v78 :: v_dual_sub_f32 v86, v44, v36
	v_sub_f32_e32 v78, v45, v33
	v_dual_fmac_f32 v79, 0xbf737871, v81 :: v_dual_add_f32 v80, v80, v84
	v_sub_f32_e32 v28, v36, v28
	s_delay_alu instid0(VALU_DEP_4) | instskip(NEXT) | instid1(VALU_DEP_4)
	v_add_f32_e32 v84, v86, v88
	v_fmamk_f32 v87, v78, 0xbf737871, v4
	v_fmac_f32_e32 v85, 0x3f167918, v78
	v_fmac_f32_e32 v4, 0x3f737871, v78
	v_dual_fmac_f32 v79, 0xbf167918, v78 :: v_dual_add_f32 v78, v45, v33
	s_delay_alu instid0(VALU_DEP_4) | instskip(NEXT) | instid1(VALU_DEP_4)
	v_fmac_f32_e32 v87, 0x3f167918, v81
	v_fmac_f32_e32 v85, 0x3e9e377a, v80
	s_delay_alu instid0(VALU_DEP_4)
	v_fmac_f32_e32 v4, 0xbf167918, v81
	v_add_f32_e32 v81, v5, v37
	v_dual_fmac_f32 v79, 0x3e9e377a, v80 :: v_dual_add_f32 v80, v37, v29
	v_fma_f32 v88, -0.5, v78, v5
	v_sub_f32_e32 v32, v44, v32
	v_dual_fmac_f32 v87, 0x3e9e377a, v84 :: v_dual_sub_f32 v78, v37, v45
	s_delay_alu instid0(VALU_DEP_4)
	v_fma_f32 v5, -0.5, v80, v5
	v_fmac_f32_e32 v4, 0x3e9e377a, v84
	v_add_f32_e32 v36, v81, v45
	v_sub_f32_e32 v37, v45, v37
	v_dual_sub_f32 v45, v33, v29 :: v_dual_fmamk_f32 v44, v28, 0xbf737871, v88
	v_dual_fmamk_f32 v81, v32, 0x3f737871, v5 :: v_dual_sub_f32 v80, v29, v33
	v_fmac_f32_e32 v5, 0xbf737871, v32
	s_delay_alu instid0(VALU_DEP_3) | instskip(NEXT) | instid1(VALU_DEP_3)
	v_dual_add_f32 v37, v37, v45 :: v_dual_fmac_f32 v44, 0xbf167918, v32
	v_fmac_f32_e32 v81, 0xbf167918, v28
	v_fmac_f32_e32 v88, 0x3f737871, v28
	s_delay_alu instid0(VALU_DEP_4) | instskip(SKIP_1) | instid1(VALU_DEP_4)
	v_dual_fmac_f32 v5, 0x3f167918, v28 :: v_dual_add_f32 v28, v36, v33
	v_add_f32_e32 v45, v78, v80
	v_dual_fmac_f32 v81, 0x3e9e377a, v37 :: v_dual_mul_f32 v36, 0x3e9e377a, v4
	v_add_f32_e32 v78, v2, v74
	s_delay_alu instid0(VALU_DEP_4) | instskip(SKIP_1) | instid1(VALU_DEP_4)
	v_add_f32_e32 v28, v28, v29
	v_fmac_f32_e32 v5, 0x3e9e377a, v37
	v_mul_f32_e32 v33, 0x3f737871, v81
	v_fmac_f32_e32 v88, 0x3f167918, v32
	v_mul_f32_e32 v32, 0x3f4f1bbd, v85
	v_fmac_f32_e32 v44, 0x3e9e377a, v45
	v_fma_f32 v29, 0x3f737871, v5, -v36
	s_delay_alu instid0(VALU_DEP_4) | instskip(SKIP_3) | instid1(VALU_DEP_4)
	v_dual_fmac_f32 v33, 0x3e9e377a, v87 :: v_dual_fmac_f32 v88, 0x3e9e377a, v45
	v_mul_f32_e32 v36, 0x3f4f1bbd, v79
	v_mul_f32_e32 v37, 0xbf167918, v85
	v_dual_mul_f32 v5, 0x3e9e377a, v5 :: v_dual_sub_f32 v90, v2, v74
	v_dual_mul_f32 v85, 0x3f4f1bbd, v88 :: v_dual_add_f32 v84, v3, v33
	v_mul_f32_e32 v45, 0xbf737871, v87
	s_delay_alu instid0(VALU_DEP_3) | instskip(SKIP_1) | instid1(VALU_DEP_4)
	v_fma_f32 v4, 0xbf737871, v4, -v5
	v_add_f32_e32 v2, v68, v72
	v_fma_f32 v5, 0xbf167918, v79, -v85
	v_add_f32_e32 v79, v67, v28
	v_fma_f32 v36, 0x3f167918, v88, -v36
	v_fmac_f32_e32 v45, 0x3e9e377a, v81
	s_delay_alu instid0(VALU_DEP_4) | instskip(SKIP_1) | instid1(VALU_DEP_4)
	v_dual_fmac_f32 v32, 0x3f167918, v44 :: v_dual_add_f32 v89, v82, v5
	v_dual_sub_f32 v94, v3, v33 :: v_dual_add_f32 v3, v0, v64
	v_add_f32_e32 v88, v66, v36
	v_dual_add_f32 v86, v75, v29 :: v_dual_fmac_f32 v37, 0x3f4f1bbd, v44
	s_delay_alu instid0(VALU_DEP_4) | instskip(SKIP_1) | instid1(VALU_DEP_3)
	v_dual_add_f32 v85, v97, v45 :: v_dual_add_f32 v80, v70, v32
	v_dual_sub_f32 v96, v75, v29 :: v_dual_sub_f32 v33, v64, v68
	v_dual_add_f32 v81, v71, v37 :: v_dual_sub_f32 v98, v66, v36
	v_sub_f32_e32 v93, v71, v37
	v_fma_f32 v2, -0.5, v2, v0
	v_sub_f32_e32 v29, v65, v77
	v_dual_add_f32 v37, v64, v76 :: v_dual_add_f32 v44, v69, v73
	v_add_f32_e32 v87, v83, v4
	v_sub_f32_e32 v92, v70, v32
	v_dual_sub_f32 v91, v67, v28 :: v_dual_sub_f32 v32, v69, v73
	v_dual_sub_f32 v95, v97, v45 :: v_dual_sub_f32 v36, v76, v72
	v_dual_add_f32 v3, v3, v68 :: v_dual_fmamk_f32 v28, v29, 0x3f737871, v2
	v_fmac_f32_e32 v2, 0xbf737871, v29
	v_fma_f32 v0, -0.5, v37, v0
	v_sub_f32_e32 v99, v82, v5
	v_add_f32_e32 v37, v1, v65
	v_sub_f32_e32 v97, v83, v4
	v_fmac_f32_e32 v28, 0x3f167918, v32
	v_dual_add_f32 v4, v33, v36 :: v_dual_fmamk_f32 v5, v32, 0xbf737871, v0
	v_sub_f32_e32 v33, v68, v64
	v_sub_f32_e32 v36, v72, v76
	v_fmac_f32_e32 v2, 0xbf167918, v32
	v_dual_fmac_f32 v0, 0x3f737871, v32 :: v_dual_sub_f32 v45, v65, v69
	v_add_f32_e32 v3, v3, v72
	v_fmac_f32_e32 v5, 0x3f167918, v29
	v_add_f32_e32 v33, v33, v36
	v_add_f32_e32 v32, v37, v69
	v_fma_f32 v36, -0.5, v44, v1
	v_dual_sub_f32 v37, v64, v76 :: v_dual_sub_f32 v64, v77, v73
	v_fmac_f32_e32 v28, 0x3e9e377a, v4
	v_fmac_f32_e32 v2, 0x3e9e377a, v4
	v_dual_fmac_f32 v0, 0xbf167918, v29 :: v_dual_add_f32 v3, v3, v76
	s_delay_alu instid0(VALU_DEP_4) | instskip(SKIP_3) | instid1(VALU_DEP_4)
	v_dual_add_f32 v4, v32, v73 :: v_dual_fmamk_f32 v29, v37, 0xbf737871, v36
	v_sub_f32_e32 v44, v68, v72
	v_add_f32_e32 v32, v65, v77
	v_fmac_f32_e32 v36, 0x3f737871, v37
	v_add_f32_e32 v4, v4, v77
	v_fmac_f32_e32 v0, 0x3e9e377a, v33
	v_fmac_f32_e32 v29, 0xbf167918, v44
	v_fmac_f32_e32 v1, -0.5, v32
	v_add_f32_e32 v32, v45, v64
	v_sub_f32_e32 v45, v69, v65
	v_add_f32_e32 v65, v6, v38
	v_fmac_f32_e32 v5, 0x3e9e377a, v33
	v_dual_fmamk_f32 v33, v44, 0x3f737871, v1 :: v_dual_sub_f32 v64, v73, v77
	v_fmac_f32_e32 v29, 0x3e9e377a, v32
	v_fmac_f32_e32 v1, 0xbf737871, v44
	;; [unrolled: 1-line block ×3, first 2 shown]
	s_delay_alu instid0(VALU_DEP_4) | instskip(SKIP_1) | instid1(VALU_DEP_4)
	v_dual_add_f32 v44, v65, v46 :: v_dual_fmac_f32 v33, 0xbf167918, v37
	v_dual_add_f32 v45, v45, v64 :: v_dual_add_f32 v64, v46, v34
	v_fmac_f32_e32 v1, 0x3f167918, v37
	s_delay_alu instid0(VALU_DEP_4) | instskip(NEXT) | instid1(VALU_DEP_3)
	v_fmac_f32_e32 v36, 0x3e9e377a, v32
	v_dual_add_f32 v32, v44, v34 :: v_dual_fmac_f32 v33, 0x3e9e377a, v45
	v_add_f32_e32 v44, v38, v30
	v_fma_f32 v37, -0.5, v64, v6
	v_dual_sub_f32 v64, v39, v31 :: v_dual_fmac_f32 v1, 0x3e9e377a, v45
	s_delay_alu instid0(VALU_DEP_4) | instskip(NEXT) | instid1(VALU_DEP_4)
	v_dual_add_f32 v32, v32, v30 :: v_dual_sub_f32 v45, v47, v35
	v_fma_f32 v6, -0.5, v44, v6
	s_delay_alu instid0(VALU_DEP_3) | instskip(SKIP_1) | instid1(VALU_DEP_3)
	v_dual_fmamk_f32 v44, v64, 0x3f737871, v37 :: v_dual_sub_f32 v65, v38, v46
	v_dual_sub_f32 v66, v30, v34 :: v_dual_fmac_f32 v37, 0xbf737871, v64
	v_dual_fmamk_f32 v67, v45, 0xbf737871, v6 :: v_dual_sub_f32 v68, v46, v38
	v_dual_fmac_f32 v6, 0x3f737871, v45 :: v_dual_sub_f32 v69, v34, v30
	s_delay_alu instid0(VALU_DEP_3) | instskip(NEXT) | instid1(VALU_DEP_4)
	v_dual_fmac_f32 v44, 0x3f167918, v45 :: v_dual_add_f32 v65, v65, v66
	v_fmac_f32_e32 v37, 0xbf167918, v45
	s_delay_alu instid0(VALU_DEP_4) | instskip(NEXT) | instid1(VALU_DEP_4)
	v_fmac_f32_e32 v67, 0x3f167918, v64
	v_dual_add_f32 v45, v47, v35 :: v_dual_fmac_f32 v6, 0xbf167918, v64
	v_add_f32_e32 v64, v39, v31
	v_add_f32_e32 v66, v68, v69
	v_fmac_f32_e32 v44, 0x3e9e377a, v65
	v_dual_fmac_f32 v37, 0x3e9e377a, v65 :: v_dual_sub_f32 v30, v38, v30
	v_dual_add_f32 v65, v7, v39 :: v_dual_sub_f32 v34, v46, v34
	v_fma_f32 v45, -0.5, v45, v7
	v_dual_fmac_f32 v7, -0.5, v64 :: v_dual_fmac_f32 v6, 0x3e9e377a, v66
	s_delay_alu instid0(VALU_DEP_3) | instskip(NEXT) | instid1(VALU_DEP_3)
	v_dual_fmac_f32 v67, 0x3e9e377a, v66 :: v_dual_add_f32 v38, v65, v47
	v_fmamk_f32 v46, v30, 0xbf737871, v45
	s_delay_alu instid0(VALU_DEP_3) | instskip(SKIP_2) | instid1(VALU_DEP_4)
	v_dual_sub_f32 v64, v39, v47 :: v_dual_fmamk_f32 v65, v34, 0x3f737871, v7
	v_fmac_f32_e32 v7, 0xbf737871, v34
	v_sub_f32_e32 v39, v47, v39
	v_dual_sub_f32 v47, v35, v31 :: v_dual_fmac_f32 v46, 0xbf167918, v34
	s_delay_alu instid0(VALU_DEP_4) | instskip(SKIP_1) | instid1(VALU_DEP_3)
	v_dual_sub_f32 v66, v31, v35 :: v_dual_fmac_f32 v65, 0xbf167918, v30
	v_fmac_f32_e32 v45, 0x3f737871, v30
	v_add_f32_e32 v39, v39, v47
	v_fmac_f32_e32 v7, 0x3f167918, v30
	s_delay_alu instid0(VALU_DEP_4) | instskip(SKIP_3) | instid1(VALU_DEP_4)
	v_dual_add_f32 v47, v64, v66 :: v_dual_add_f32 v30, v38, v35
	v_add_f32_e32 v64, v3, v32
	v_mul_f32_e32 v38, 0x3e9e377a, v6
	v_sub_f32_e32 v74, v3, v32
	v_add_f32_e32 v30, v30, v31
	v_fmac_f32_e32 v46, 0x3e9e377a, v47
	v_fmac_f32_e32 v45, 0x3f167918, v34
	v_mul_f32_e32 v34, 0x3f4f1bbd, v44
	v_fmac_f32_e32 v65, 0x3e9e377a, v39
	v_fmac_f32_e32 v7, 0x3e9e377a, v39
	v_mul_f32_e32 v39, 0xbf167918, v44
	v_dual_mul_f32 v44, 0xbf737871, v67 :: v_dual_sub_f32 v75, v4, v30
	s_delay_alu instid0(VALU_DEP_4) | instskip(NEXT) | instid1(VALU_DEP_2)
	v_mul_f32_e32 v35, 0x3f737871, v65
	v_dual_fmac_f32 v44, 0x3e9e377a, v65 :: v_dual_add_f32 v65, v4, v30
	s_delay_alu instid0(VALU_DEP_4) | instskip(SKIP_2) | instid1(VALU_DEP_2)
	v_fmac_f32_e32 v39, 0x3f4f1bbd, v46
	v_fmac_f32_e32 v34, 0x3f167918, v46
	v_add_f32_e32 v4, v12, v24
	v_dual_add_f32 v69, v33, v44 :: v_dual_add_f32 v66, v28, v34
	v_fma_f32 v31, 0x3f737871, v7, -v38
	v_mul_f32_e32 v38, 0x3f4f1bbd, v37
	v_mul_f32_e32 v7, 0x3e9e377a, v7
	v_fma_f32 v30, -0.5, v4, v8
	v_sub_f32_e32 v4, v20, v24
	v_add_f32_e32 v70, v0, v31
	v_fmac_f32_e32 v35, 0x3e9e377a, v67
	v_sub_f32_e32 v106, v0, v31
	v_sub_f32_e32 v0, v13, v25
	v_fma_f32 v6, 0xbf737871, v6, -v7
	v_add_f32_e32 v67, v29, v39
	v_add_f32_e32 v68, v5, v35
	v_fmac_f32_e32 v45, 0x3e9e377a, v47
	v_sub_f32_e32 v104, v5, v35
	v_dual_sub_f32 v102, v28, v34 :: v_dual_sub_f32 v103, v29, v39
	v_sub_f32_e32 v107, v1, v6
	s_delay_alu instid0(VALU_DEP_4) | instskip(SKIP_2) | instid1(VALU_DEP_3)
	v_fma_f32 v38, 0x3f167918, v45, -v38
	v_add_f32_e32 v71, v1, v6
	v_sub_f32_e32 v6, v25, v21
	v_dual_add_f32 v72, v2, v38 :: v_dual_mul_f32 v45, 0x3f4f1bbd, v45
	v_sub_f32_e32 v108, v2, v38
	v_dual_sub_f32 v2, v17, v21 :: v_dual_sub_f32 v5, v24, v20
	v_sub_f32_e32 v38, v18, v22
	s_delay_alu instid0(VALU_DEP_4) | instskip(SKIP_1) | instid1(VALU_DEP_4)
	v_fma_f32 v7, 0xbf167918, v37, -v45
	v_add_f32_e32 v37, v16, v20
	v_fmamk_f32 v31, v2, 0xbf737871, v30
	s_delay_alu instid0(VALU_DEP_3) | instskip(NEXT) | instid1(VALU_DEP_3)
	v_dual_fmac_f32 v30, 0x3f737871, v2 :: v_dual_add_f32 v73, v36, v7
	v_fma_f32 v28, -0.5, v37, v8
	s_delay_alu instid0(VALU_DEP_2) | instskip(NEXT) | instid1(VALU_DEP_2)
	v_dual_sub_f32 v109, v36, v7 :: v_dual_fmac_f32 v30, 0xbf167918, v0
	v_dual_sub_f32 v36, v22, v26 :: v_dual_fmamk_f32 v29, v0, 0x3f737871, v28
	v_fmac_f32_e32 v28, 0xbf737871, v0
	v_dual_sub_f32 v105, v33, v44 :: v_dual_sub_f32 v44, v19, v15
	s_delay_alu instid0(VALU_DEP_3) | instskip(NEXT) | instid1(VALU_DEP_3)
	v_fmac_f32_e32 v29, 0x3f167918, v2
	v_dual_fmac_f32 v28, 0xbf167918, v2 :: v_dual_sub_f32 v3, v12, v16
	s_delay_alu instid0(VALU_DEP_1) | instskip(SKIP_2) | instid1(VALU_DEP_3)
	v_dual_sub_f32 v2, v16, v20 :: v_dual_add_f32 v1, v3, v5
	v_add_f32_e32 v3, v17, v21
	v_sub_f32_e32 v5, v13, v17
	v_fmac_f32_e32 v28, 0x3e9e377a, v1
	s_delay_alu instid0(VALU_DEP_3) | instskip(SKIP_1) | instid1(VALU_DEP_1)
	v_fma_f32 v32, -0.5, v3, v9
	v_sub_f32_e32 v3, v16, v12
	v_dual_add_f32 v3, v3, v4 :: v_dual_add_f32 v4, v5, v6
	v_dual_fmac_f32 v31, 0x3f167918, v0 :: v_dual_add_f32 v0, v13, v25
	v_fmac_f32_e32 v29, 0x3e9e377a, v1
	v_dual_sub_f32 v1, v12, v24 :: v_dual_sub_f32 v6, v14, v18
	s_delay_alu instid0(VALU_DEP_3) | instskip(NEXT) | instid1(VALU_DEP_2)
	v_fma_f32 v34, -0.5, v0, v9
	v_dual_add_f32 v0, v18, v22 :: v_dual_fmamk_f32 v33, v1, 0xbf737871, v32
	v_fmac_f32_e32 v32, 0x3f737871, v1
	s_delay_alu instid0(VALU_DEP_3) | instskip(SKIP_1) | instid1(VALU_DEP_4)
	v_fmamk_f32 v35, v2, 0x3f737871, v34
	v_fmac_f32_e32 v34, 0xbf737871, v2
	v_fma_f32 v0, -0.5, v0, v10
	s_delay_alu instid0(VALU_DEP_4) | instskip(NEXT) | instid1(VALU_DEP_4)
	v_fmac_f32_e32 v32, 0x3f167918, v2
	v_fmac_f32_e32 v35, 0xbf167918, v1
	s_delay_alu instid0(VALU_DEP_4) | instskip(NEXT) | instid1(VALU_DEP_3)
	v_fmac_f32_e32 v34, 0x3f167918, v1
	v_dual_fmac_f32 v31, 0x3e9e377a, v3 :: v_dual_fmac_f32 v32, 0x3e9e377a, v4
	v_dual_fmac_f32 v30, 0x3e9e377a, v3 :: v_dual_sub_f32 v3, v17, v13
	v_sub_f32_e32 v5, v21, v25
	s_delay_alu instid0(VALU_DEP_1) | instskip(SKIP_2) | instid1(VALU_DEP_1)
	v_add_f32_e32 v3, v3, v5
	v_sub_f32_e32 v5, v19, v23
	v_dual_fmac_f32 v33, 0xbf167918, v2 :: v_dual_sub_f32 v2, v15, v27
	v_fmamk_f32 v1, v2, 0x3f737871, v0
	v_fmac_f32_e32 v0, 0xbf737871, v2
	v_fmac_f32_e32 v35, 0x3e9e377a, v3
	;; [unrolled: 1-line block ×3, first 2 shown]
	s_delay_alu instid0(VALU_DEP_3) | instskip(SKIP_1) | instid1(VALU_DEP_1)
	v_fmac_f32_e32 v0, 0xbf167918, v5
	v_dual_fmac_f32 v33, 0x3e9e377a, v4 :: v_dual_add_f32 v4, v14, v26
	v_fma_f32 v4, -0.5, v4, v10
	v_sub_f32_e32 v7, v26, v22
	s_delay_alu instid0(VALU_DEP_1) | instskip(NEXT) | instid1(VALU_DEP_3)
	v_add_f32_e32 v3, v6, v7
	v_dual_sub_f32 v7, v18, v14 :: v_dual_fmamk_f32 v6, v5, 0xbf737871, v4
	s_delay_alu instid0(VALU_DEP_1) | instskip(SKIP_1) | instid1(VALU_DEP_3)
	v_add_f32_e32 v7, v7, v36
	v_add_f32_e32 v36, v15, v27
	v_fmac_f32_e32 v6, 0x3f167918, v2
	v_dual_fmac_f32 v4, 0x3f737871, v5 :: v_dual_add_f32 v37, v19, v23
	s_delay_alu instid0(VALU_DEP_3) | instskip(SKIP_1) | instid1(VALU_DEP_3)
	v_fma_f32 v39, -0.5, v36, v11
	v_sub_f32_e32 v36, v15, v19
	v_fmac_f32_e32 v4, 0xbf167918, v2
	v_fmac_f32_e32 v1, 0x3f167918, v5
	v_fma_f32 v5, -0.5, v37, v11
	v_fmamk_f32 v46, v38, 0x3f737871, v39
	v_dual_sub_f32 v37, v14, v26 :: v_dual_fmac_f32 v6, 0x3e9e377a, v7
	s_delay_alu instid0(VALU_DEP_1) | instskip(NEXT) | instid1(VALU_DEP_4)
	v_dual_sub_f32 v47, v27, v23 :: v_dual_fmac_f32 v46, 0xbf167918, v37
	v_dual_fmamk_f32 v2, v37, 0xbf737871, v5 :: v_dual_sub_f32 v45, v23, v27
	v_fmac_f32_e32 v5, 0x3f737871, v37
	s_delay_alu instid0(VALU_DEP_2) | instskip(NEXT) | instid1(VALU_DEP_3)
	v_fmac_f32_e32 v2, 0xbf167918, v38
	v_dual_fmac_f32 v1, 0x3e9e377a, v3 :: v_dual_add_f32 v44, v44, v45
	s_delay_alu instid0(VALU_DEP_1) | instskip(NEXT) | instid1(VALU_DEP_1)
	v_dual_add_f32 v45, v36, v47 :: v_dual_fmac_f32 v46, 0x3e9e377a, v44
	v_fmac_f32_e32 v2, 0x3e9e377a, v45
	v_fmac_f32_e32 v0, 0x3e9e377a, v3
	s_delay_alu instid0(VALU_DEP_1) | instskip(NEXT) | instid1(VALU_DEP_1)
	v_dual_mul_f32 v36, 0x3f4f1bbd, v1 :: v_dual_mul_f32 v3, 0x3f4f1bbd, v0
	v_fmac_f32_e32 v36, 0x3f167918, v2
	v_fmac_f32_e32 v39, 0xbf737871, v38
	s_delay_alu instid0(VALU_DEP_1) | instskip(SKIP_1) | instid1(VALU_DEP_2)
	v_fmac_f32_e32 v39, 0x3f167918, v37
	v_mul_f32_e32 v37, 0x3f737871, v46
	v_dual_fmac_f32 v4, 0x3e9e377a, v7 :: v_dual_fmac_f32 v39, 0x3e9e377a, v44
	s_delay_alu instid0(VALU_DEP_2) | instskip(SKIP_2) | instid1(VALU_DEP_4)
	v_fmac_f32_e32 v37, 0x3e9e377a, v6
	v_fmac_f32_e32 v5, 0x3f167918, v38
	v_mul_f32_e32 v44, 0xbf167918, v1
	v_mul_f32_e32 v7, 0x3e9e377a, v4
	;; [unrolled: 1-line block ×3, first 2 shown]
	s_delay_alu instid0(VALU_DEP_4) | instskip(SKIP_1) | instid1(VALU_DEP_4)
	v_fmac_f32_e32 v5, 0x3e9e377a, v45
	v_mul_f32_e32 v45, 0xbf737871, v6
	v_fma_f32 v38, 0x3f737871, v39, -v7
	s_delay_alu instid0(VALU_DEP_3) | instskip(NEXT) | instid1(VALU_DEP_3)
	v_mul_f32_e32 v6, 0x3f4f1bbd, v5
	v_fmac_f32_e32 v45, 0x3e9e377a, v46
	v_fma_f32 v46, 0xbf737871, v4, -v1
	v_mul_lo_u16 v1, v239, 10
	v_fma_f32 v39, 0x3f167918, v5, -v3
	v_fma_f32 v47, 0xbf167918, v0, -v6
	v_sub_f32_e32 v6, v31, v37
	v_sub_f32_e32 v0, v30, v38
	v_dual_sub_f32 v1, v34, v46 :: v_dual_and_b32 v76, 0xffff, v1
	s_delay_alu instid0(VALU_DEP_4) | instskip(SKIP_1) | instid1(VALU_DEP_3)
	v_dual_sub_f32 v3, v32, v47 :: v_dual_fmac_f32 v44, 0x3f4f1bbd, v2
	v_sub_f32_e32 v7, v35, v45
	v_lshlrev_b32_e32 v77, 3, v76
	v_mul_u32_u24_e32 v76, 10, v148
	ds_store_b128 v77, v[52:55]
	ds_store_b128 v77, v[56:59] offset:16
	v_mul_u32_u24_e32 v52, 10, v100
	v_dual_sub_f32 v2, v28, v39 :: v_dual_sub_f32 v5, v33, v44
	v_sub_f32_e32 v4, v29, v36
	v_lshlrev_b32_e32 v53, 3, v76
	ds_store_b128 v77, v[40:43] offset:32
	ds_store_b128 v77, v[48:51] offset:48
	v_lshlrev_b32_e32 v41, 3, v52
	v_mul_u32_u24_e32 v40, 10, v101
	scratch_store_b32 off, v77, off offset:392 ; 4-byte Folded Spill
	ds_store_b128 v77, v[60:63] offset:64
	ds_store_b128 v53, v[78:81]
	ds_store_b128 v53, v[84:87] offset:16
	ds_store_b128 v53, v[88:91] offset:32
	;; [unrolled: 1-line block ×3, first 2 shown]
	s_clause 0x1
	scratch_store_b32 off, v53, off offset:332
	scratch_store_b32 off, v40, off offset:448
	ds_store_b128 v53, v[96:99] offset:64
	ds_store_b128 v41, v[64:67]
	ds_store_b128 v41, v[68:71] offset:16
	ds_store_b128 v41, v[72:75] offset:32
	;; [unrolled: 1-line block ×3, first 2 shown]
	scratch_store_b32 off, v41, off offset:336 ; 4-byte Folded Spill
	ds_store_b128 v41, v[106:109] offset:64
	s_and_saveexec_b32 s2, vcc_lo
	s_cbranch_execz .LBB0_7
; %bb.6:
	v_dual_add_f32 v9, v9, v13 :: v_dual_add_f32 v8, v8, v12
	v_dual_add_f32 v11, v11, v15 :: v_dual_add_f32 v10, v10, v14
	v_add_f32_e32 v13, v35, v45
	s_delay_alu instid0(VALU_DEP_3) | instskip(NEXT) | instid1(VALU_DEP_3)
	v_dual_add_f32 v9, v9, v17 :: v_dual_add_f32 v8, v8, v16
	v_dual_add_f32 v11, v11, v19 :: v_dual_add_f32 v10, v10, v18
	v_add_f32_e32 v19, v33, v44
	s_delay_alu instid0(VALU_DEP_3) | instskip(NEXT) | instid1(VALU_DEP_3)
	v_dual_add_f32 v9, v9, v21 :: v_dual_add_f32 v8, v8, v20
	v_dual_add_f32 v11, v11, v23 :: v_dual_add_f32 v10, v10, v22
	s_delay_alu instid0(VALU_DEP_2) | instskip(SKIP_1) | instid1(VALU_DEP_4)
	v_dual_add_f32 v15, v34, v46 :: v_dual_add_f32 v12, v9, v25
	v_add_f32_e32 v9, v32, v47
	v_add_f32_e32 v8, v8, v24
	s_delay_alu instid0(VALU_DEP_4) | instskip(SKIP_2) | instid1(VALU_DEP_3)
	v_add_f32_e32 v16, v10, v26
	v_add_f32_e32 v14, v11, v27
	v_add_f32_e32 v18, v29, v36
	v_sub_f32_e32 v10, v8, v16
	v_add_f32_e32 v16, v8, v16
	v_mul_u32_u24_e32 v8, 10, v101
	v_sub_f32_e32 v11, v12, v14
	v_add_f32_e32 v17, v12, v14
	v_add_f32_e32 v14, v30, v38
	;; [unrolled: 1-line block ×3, first 2 shown]
	v_lshlrev_b32_e32 v20, 3, v8
	v_add_f32_e32 v8, v28, v39
	ds_store_b128 v20, v[16:19]
	ds_store_b128 v20, v[12:15] offset:16
	ds_store_b128 v20, v[8:11] offset:32
	ds_store_b128 v20, v[4:7] offset:48
	ds_store_b128 v20, v[0:3] offset:64
.LBB0_7:
	s_or_b32 exec_lo, exec_lo, s2
	v_and_b32_e32 v8, 0xff, v239
	v_and_b32_e32 v9, 0xff, v148
	s_waitcnt lgkmcnt(0)
	s_waitcnt_vscnt null, 0x0
	s_barrier
	buffer_gl0_inv
	v_mul_lo_u16 v8, 0xcd, v8
	v_mul_lo_u16 v9, 0xcd, v9
	v_add_nc_u32_e32 v168, 0x2000, v255
	v_add_nc_u32_e32 v170, 0x3800, v255
	v_and_b32_e32 v64, 0xff, v101
	v_lshrrev_b16 v60, 11, v8
	v_lshrrev_b16 v46, 11, v9
	v_add_nc_u32_e32 v174, 0xc00, v255
	v_add_nc_u32_e32 v172, 0x1800, v255
	;; [unrolled: 1-line block ×3, first 2 shown]
	v_mul_lo_u16 v8, v60, 10
	v_mul_lo_u16 v9, v46, 10
	v_and_b32_e32 v65, 0xff, v100
	v_and_b32_e32 v46, 0xffff, v46
	v_add_nc_u32_e32 v171, 0x3000, v255
	v_sub_nc_u16 v8, v239, v8
	v_sub_nc_u16 v9, v148, v9
	v_add_nc_u32_e32 v67, 0x12c, v239
	v_mul_u32_u24_e32 v46, 60, v46
	v_add_nc_u32_e32 v173, 0x1000, v255
	v_and_b32_e32 v71, 0xff, v8
	v_and_b32_e32 v47, 0xff, v9
	;; [unrolled: 1-line block ×3, first 2 shown]
	v_add_nc_u32_e32 v219, 0x3c00, v255
	v_add_nc_u32_e32 v175, 0x400, v255
	v_mad_u64_u32 v[28:29], null, v71, 40, s[0:1]
	v_mad_u64_u32 v[30:31], null, v47, 40, s[0:1]
	s_clause 0x1
	global_load_b128 v[12:15], v[28:29], off
	global_load_b128 v[8:11], v[30:31], off
	v_add_nc_u32_e32 v167, 0x1400, v255
	ds_load_2addr_b64 v[20:23], v167 offset0:80 offset1:140
	s_waitcnt vmcnt(0) lgkmcnt(0)
	v_mul_f32_e32 v91, v22, v11
	s_delay_alu instid0(VALU_DEP_1)
	v_dual_fmac_f32 v91, v23, v10 :: v_dual_add_nc_u32 v166, 0x800, v255
	ds_load_2addr_b64 v[16:19], v166 offset0:104 offset1:164
	s_waitcnt lgkmcnt(0)
	v_mul_f32_e32 v24, v17, v13
	v_mul_f32_e32 v90, v16, v13
	;; [unrolled: 1-line block ×4, first 2 shown]
	s_delay_alu instid0(VALU_DEP_4) | instskip(NEXT) | instid1(VALU_DEP_4)
	v_fma_f32 v107, v16, v12, -v24
	v_fmac_f32_e32 v90, v17, v12
	s_delay_alu instid0(VALU_DEP_4)
	v_fma_f32 v84, v18, v8, -v25
	v_mul_f32_e32 v16, v21, v15
	ds_load_2addr_b64 v[24:27], v168 offset0:56 offset1:116
	v_mul_f32_e32 v120, v20, v15
	v_mul_f32_e32 v17, v23, v11
	v_fma_f32 v123, v20, v14, -v16
	s_delay_alu instid0(VALU_DEP_3) | instskip(NEXT) | instid1(VALU_DEP_3)
	v_fmac_f32_e32 v120, v21, v14
	v_fma_f32 v97, v22, v10, -v17
	global_load_b128 v[20:23], v[28:29], off offset:16
	s_waitcnt vmcnt(0) lgkmcnt(0)
	v_dual_fmac_f32 v74, v19, v8 :: v_dual_mul_f32 v121, v24, v21
	v_mul_f32_e32 v16, v25, v21
	s_delay_alu instid0(VALU_DEP_2) | instskip(NEXT) | instid1(VALU_DEP_2)
	v_fmac_f32_e32 v121, v25, v20
	v_fma_f32 v122, v24, v20, -v16
	global_load_b128 v[16:19], v[30:31], off offset:16
	s_waitcnt vmcnt(0)
	v_mul_f32_e32 v24, v27, v17
	v_mul_f32_e32 v92, v26, v17
	s_delay_alu instid0(VALU_DEP_2) | instskip(NEXT) | instid1(VALU_DEP_2)
	v_fma_f32 v95, v26, v16, -v24
	v_fmac_f32_e32 v92, v27, v16
	ds_load_2addr_b64 v[24:27], v169 offset0:160 offset1:220
	s_waitcnt lgkmcnt(0)
	v_mul_f32_e32 v32, v25, v23
	v_mul_f32_e32 v124, v24, v23
	;; [unrolled: 1-line block ×3, first 2 shown]
	s_delay_alu instid0(VALU_DEP_3)
	v_fma_f32 v126, v24, v22, -v32
	s_clause 0x1
	global_load_b64 v[32:33], v[28:29], off offset:32
	global_load_b64 v[29:30], v[30:31], off offset:32
	v_mul_f32_e32 v24, v27, v19
	v_fmac_f32_e32 v124, v25, v22
	v_fmac_f32_e32 v108, v27, v18
	s_delay_alu instid0(VALU_DEP_3)
	v_fma_f32 v112, v26, v18, -v24
	ds_load_2addr_b64 v[24:27], v170 offset0:8 offset1:68
	s_waitcnt vmcnt(1) lgkmcnt(0)
	v_mul_f32_e32 v28, v25, v33
	s_waitcnt vmcnt(0)
	v_dual_mul_f32 v125, v24, v33 :: v_dual_mul_f32 v110, v26, v30
	s_clause 0x1
	scratch_store_b64 off, v[32:33], off offset:308
	scratch_store_b64 off, v[29:30], off offset:300
	v_fma_f32 v127, v24, v32, -v28
	v_mul_f32_e32 v24, v27, v30
	v_dual_fmac_f32 v110, v27, v29 :: v_dual_fmac_f32 v125, v25, v32
	ds_load_2addr_b64 v[40:43], v168 offset0:176 offset1:236
	v_add_nc_u32_e32 v66, 0xf0, v239
	v_fma_f32 v113, v26, v29, -v24
	v_mul_lo_u16 v24, 0xcd, v65
	ds_load_2addr_b64 v[26:29], v174 offset0:96 offset1:156
	v_and_b32_e32 v60, 0xffff, v60
	v_dual_sub_f32 v145, v122, v127 :: v_dual_and_b32 v68, 0xffff, v66
	v_lshrrev_b16 v88, 11, v24
	v_mul_lo_u16 v24, 0xcd, v64
	s_delay_alu instid0(VALU_DEP_4) | instskip(SKIP_2) | instid1(VALU_DEP_4)
	v_mul_u32_u24_e32 v60, 60, v60
	v_sub_f32_e32 v147, v121, v125
	v_mul_lo_u16 v65, 0x89, v65
	v_lshrrev_b16 v61, 11, v24
	v_mul_lo_u16 v24, v88, 10
	v_add_lshl_u32 v155, v60, v71, 3
	v_add_f32_e32 v71, v123, v126
	v_lshrrev_b16 v65, 13, v65
	v_mul_lo_u16 v25, v61, 10
	v_sub_nc_u16 v24, v100, v24
	s_delay_alu instid0(VALU_DEP_3) | instskip(NEXT) | instid1(VALU_DEP_3)
	v_mul_lo_u16 v65, v65, 60
	v_sub_nc_u16 v25, v101, v25
	s_delay_alu instid0(VALU_DEP_3) | instskip(NEXT) | instid1(VALU_DEP_3)
	v_and_b32_e32 v89, 0xff, v24
	v_sub_nc_u16 v65, v100, v65
	s_delay_alu instid0(VALU_DEP_3) | instskip(NEXT) | instid1(VALU_DEP_3)
	v_and_b32_e32 v62, 0xff, v25
	v_mad_u64_u32 v[44:45], null, v89, 40, s[0:1]
	s_delay_alu instid0(VALU_DEP_3) | instskip(NEXT) | instid1(VALU_DEP_3)
	v_and_b32_e32 v176, 0xff, v65
	v_mad_u64_u32 v[48:49], null, v62, 40, s[0:1]
	global_load_b128 v[36:39], v[44:45], off
	s_waitcnt vmcnt(0) lgkmcnt(0)
	v_mul_f32_e32 v24, v27, v37
	v_mul_f32_e32 v80, v26, v37
	s_delay_alu instid0(VALU_DEP_2) | instskip(NEXT) | instid1(VALU_DEP_2)
	v_fma_f32 v79, v26, v36, -v24
	v_fmac_f32_e32 v80, v27, v36
	global_load_b128 v[24:27], v[48:49], off
	s_waitcnt vmcnt(0)
	v_mul_f32_e32 v30, v29, v25
	v_mul_f32_e32 v70, v28, v25
	s_delay_alu instid0(VALU_DEP_2) | instskip(NEXT) | instid1(VALU_DEP_2)
	v_fma_f32 v63, v28, v24, -v30
	v_fmac_f32_e32 v70, v29, v24
	ds_load_2addr_b64 v[28:31], v172 offset0:72 offset1:132
	s_waitcnt lgkmcnt(0)
	v_mul_f32_e32 v32, v29, v39
	v_mul_f32_e32 v93, v28, v39
	;; [unrolled: 1-line block ×3, first 2 shown]
	s_delay_alu instid0(VALU_DEP_3) | instskip(SKIP_3) | instid1(VALU_DEP_2)
	v_fma_f32 v98, v28, v38, -v32
	global_load_b128 v[32:35], v[44:45], off offset:16
	v_dual_mul_f32 v28, v31, v27 :: v_dual_fmac_f32 v93, v29, v38
	v_fmac_f32_e32 v75, v31, v26
	v_fma_f32 v78, v30, v26, -v28
	s_waitcnt vmcnt(0)
	v_mul_f32_e32 v28, v41, v33
	v_mul_f32_e32 v94, v40, v33
	s_delay_alu instid0(VALU_DEP_2)
	v_fma_f32 v96, v40, v32, -v28
	global_load_b128 v[28:31], v[48:49], off offset:16
	v_fmac_f32_e32 v94, v41, v32
	s_waitcnt vmcnt(0)
	v_mul_f32_e32 v40, v43, v29
	v_mul_f32_e32 v76, v42, v29
	s_delay_alu instid0(VALU_DEP_2) | instskip(NEXT) | instid1(VALU_DEP_2)
	v_fma_f32 v77, v42, v28, -v40
	v_fmac_f32_e32 v76, v43, v28
	ds_load_2addr_b64 v[40:43], v171 offset0:24 offset1:84
	s_waitcnt lgkmcnt(0)
	v_mul_f32_e32 v50, v41, v35
	v_mul_f32_e32 v109, v40, v35
	;; [unrolled: 1-line block ×3, first 2 shown]
	s_delay_alu instid0(VALU_DEP_3)
	v_fma_f32 v114, v40, v34, -v50
	s_clause 0x1
	global_load_b64 v[50:51], v[44:45], off offset:32
	global_load_b64 v[48:49], v[48:49], off offset:32
	v_dual_mul_f32 v40, v43, v31 :: v_dual_fmac_f32 v109, v41, v34
	v_fmac_f32_e32 v81, v43, v30
	ds_load_2addr_b64 v[116:119], v169 offset0:40 offset1:100
	v_fma_f32 v85, v42, v30, -v40
	ds_load_2addr_b64 v[40:43], v170 offset0:128 offset1:188
	s_waitcnt vmcnt(1) lgkmcnt(0)
	v_mul_f32_e32 v44, v41, v51
	s_waitcnt vmcnt(0)
	v_dual_mul_f32 v111, v40, v51 :: v_dual_mul_f32 v82, v42, v49
	s_clause 0x1
	scratch_store_b64 off, v[50:51], off offset:324
	scratch_store_b64 off, v[48:49], off offset:316
	v_fma_f32 v115, v40, v50, -v44
	v_dual_mul_f32 v40, v43, v49 :: v_dual_fmac_f32 v111, v41, v50
	v_fmac_f32_e32 v82, v43, v48
	ds_load_2addr_b64 v[50:53], v173 offset0:88 offset1:148
	v_fma_f32 v83, v42, v48, -v40
	v_mul_u32_u24_e32 v40, 0xcccd, v68
	s_delay_alu instid0(VALU_DEP_1) | instskip(SKIP_1) | instid1(VALU_DEP_1)
	v_lshrrev_b32_e32 v72, 19, v40
	v_mul_u32_u24_e32 v40, 0xcccd, v69
	v_lshrrev_b32_e32 v44, 19, v40
	s_delay_alu instid0(VALU_DEP_3) | instskip(NEXT) | instid1(VALU_DEP_1)
	v_mul_lo_u16 v40, v72, 10
	v_sub_nc_u16 v73, v66, v40
	s_delay_alu instid0(VALU_DEP_3) | instskip(NEXT) | instid1(VALU_DEP_1)
	v_mul_lo_u16 v40, v44, 10
	v_sub_nc_u16 v45, v67, v40
	s_delay_alu instid0(VALU_DEP_3) | instskip(NEXT) | instid1(VALU_DEP_2)
	v_mul_lo_u16 v40, v73, 40
	v_mul_lo_u16 v41, v45, 40
	s_delay_alu instid0(VALU_DEP_2) | instskip(NEXT) | instid1(VALU_DEP_2)
	v_and_b32_e32 v40, 0xffff, v40
	v_and_b32_e32 v41, 0xffff, v41
	s_delay_alu instid0(VALU_DEP_2) | instskip(NEXT) | instid1(VALU_DEP_1)
	v_add_co_u32 v135, s2, s0, v40
	v_add_co_ci_u32_e64 v136, null, s1, 0, s2
	s_delay_alu instid0(VALU_DEP_3) | instskip(NEXT) | instid1(VALU_DEP_1)
	v_add_co_u32 v137, s2, s0, v41
	v_add_co_ci_u32_e64 v138, null, s1, 0, s2
	global_load_b128 v[40:43], v[135:136], off
	s_waitcnt vmcnt(0) lgkmcnt(0)
	v_mul_f32_e32 v48, v51, v41
	v_mul_f32_e32 v103, v50, v41
	s_delay_alu instid0(VALU_DEP_2) | instskip(NEXT) | instid1(VALU_DEP_2)
	v_fma_f32 v99, v50, v40, -v48
	v_fmac_f32_e32 v103, v51, v40
	global_load_b128 v[48:51], v[137:138], off
	v_mul_lo_u16 v64, 0x89, v64
	s_delay_alu instid0(VALU_DEP_1) | instskip(NEXT) | instid1(VALU_DEP_1)
	v_lshrrev_b16 v64, 13, v64
	v_mul_lo_u16 v64, v64, 60
	s_delay_alu instid0(VALU_DEP_1) | instskip(SKIP_3) | instid1(VALU_DEP_2)
	v_sub_nc_u16 v64, v101, v64
	s_waitcnt vmcnt(0)
	v_mul_f32_e32 v54, v53, v49
	v_mul_f32_e32 v87, v52, v49
	v_fma_f32 v86, v52, v48, -v54
	s_delay_alu instid0(VALU_DEP_2)
	v_fmac_f32_e32 v87, v53, v48
	ds_load_2addr_b64 v[52:55], v172 offset0:192 offset1:252
	s_waitcnt lgkmcnt(0)
	v_mul_f32_e32 v56, v53, v43
	v_mul_f32_e32 v128, v52, v43
	;; [unrolled: 1-line block ×3, first 2 shown]
	s_delay_alu instid0(VALU_DEP_3) | instskip(SKIP_4) | instid1(VALU_DEP_3)
	v_fma_f32 v131, v52, v42, -v56
	global_load_b128 v[56:59], v[135:136], off offset:16
	v_mul_f32_e32 v52, v55, v51
	v_fmac_f32_e32 v128, v53, v42
	v_fmac_f32_e32 v102, v55, v50
	v_fma_f32 v104, v54, v50, -v52
	s_waitcnt vmcnt(0)
	v_mul_f32_e32 v52, v117, v57
	v_mul_f32_e32 v129, v116, v57
	s_delay_alu instid0(VALU_DEP_2) | instskip(SKIP_4) | instid1(VALU_DEP_1)
	v_fma_f32 v130, v116, v56, -v52
	global_load_b128 v[52:55], v[137:138], off offset:16
	v_fmac_f32_e32 v129, v117, v56
	s_waitcnt vmcnt(0)
	v_mul_f32_e32 v105, v119, v53
	v_fma_f32 v106, v118, v52, -v105
	v_mul_f32_e32 v105, v118, v53
	s_delay_alu instid0(VALU_DEP_1)
	v_fmac_f32_e32 v105, v119, v52
	ds_load_2addr_b64 v[116:119], v171 offset0:144 offset1:204
	s_clause 0x1
	global_load_b64 v[142:143], v[135:136], off offset:32
	global_load_b64 v[140:141], v[137:138], off offset:32
	ds_load_2addr_b64 v[136:139], v219 offset0:120 offset1:180
	s_waitcnt lgkmcnt(1)
	v_mul_f32_e32 v132, v117, v59
	s_delay_alu instid0(VALU_DEP_1) | instskip(SKIP_2) | instid1(VALU_DEP_2)
	v_fma_f32 v134, v116, v58, -v132
	v_mul_f32_e32 v132, v116, v59
	v_mul_f32_e32 v116, v119, v55
	v_fmac_f32_e32 v132, v117, v58
	s_delay_alu instid0(VALU_DEP_2) | instskip(SKIP_1) | instid1(VALU_DEP_1)
	v_fma_f32 v117, v118, v54, -v116
	v_mul_f32_e32 v116, v118, v55
	v_fmac_f32_e32 v116, v119, v54
	s_waitcnt vmcnt(1) lgkmcnt(0)
	v_mul_f32_e32 v118, v137, v143
	v_mul_f32_e32 v133, v136, v143
	scratch_store_b64 off, v[142:143], off offset:372 ; 8-byte Folded Spill
	s_waitcnt vmcnt(0)
	scratch_store_b64 off, v[140:141], off offset:364 ; 8-byte Folded Spill
	v_sub_f32_e32 v143, v120, v124
	v_fma_f32 v135, v136, v142, -v118
	v_dual_mul_f32 v118, v139, v141 :: v_dual_fmac_f32 v133, v137, v142
	v_sub_f32_e32 v142, v123, v126
	s_delay_alu instid0(VALU_DEP_2) | instskip(SKIP_1) | instid1(VALU_DEP_1)
	v_fma_f32 v119, v138, v140, -v118
	v_mul_f32_e32 v118, v138, v141
	v_fmac_f32_e32 v118, v139, v140
	ds_load_2addr_b64 v[136:139], v255 offset1:60
	s_waitcnt lgkmcnt(0)
	v_dual_add_f32 v60, v136, v123 :: v_dual_add_f32 v123, v137, v120
	v_add_f32_e32 v120, v120, v124
	v_fma_f32 v71, -0.5, v71, v136
	s_delay_alu instid0(VALU_DEP_3) | instskip(NEXT) | instid1(VALU_DEP_4)
	v_add_f32_e32 v60, v60, v126
	v_dual_add_f32 v144, v123, v124 :: v_dual_add_f32 v123, v121, v125
	v_add_f32_e32 v126, v122, v127
	v_add_f32_e32 v124, v90, v121
	v_fma_f32 v152, -0.5, v120, v137
	s_delay_alu instid0(VALU_DEP_4) | instskip(SKIP_2) | instid1(VALU_DEP_4)
	v_dual_fmamk_f32 v153, v143, 0x3f5db3d7, v71 :: v_dual_fmac_f32 v90, -0.5, v123
	v_add_f32_e32 v123, v107, v122
	v_fmac_f32_e32 v107, -0.5, v126
	v_dual_add_f32 v149, v124, v125 :: v_dual_fmamk_f32 v154, v142, 0xbf5db3d7, v152
	s_delay_alu instid0(VALU_DEP_3) | instskip(NEXT) | instid1(VALU_DEP_2)
	v_dual_fmamk_f32 v121, v145, 0xbf5db3d7, v90 :: v_dual_add_f32 v146, v123, v127
	v_dual_fmamk_f32 v122, v147, 0x3f5db3d7, v107 :: v_dual_add_f32 v137, v144, v149
	v_fmac_f32_e32 v107, 0xbf5db3d7, v147
	s_delay_alu instid0(VALU_DEP_3) | instskip(NEXT) | instid1(VALU_DEP_4)
	v_mul_f32_e32 v150, 0x3f5db3d7, v121
	v_add_f32_e32 v136, v60, v146
	s_delay_alu instid0(VALU_DEP_4) | instskip(SKIP_1) | instid1(VALU_DEP_4)
	v_mul_f32_e32 v151, 0xbf5db3d7, v122
	v_fmac_f32_e32 v90, 0x3f5db3d7, v145
	v_dual_fmac_f32 v71, 0xbf5db3d7, v143 :: v_dual_fmac_f32 v150, 0.5, v122
	s_delay_alu instid0(VALU_DEP_3)
	v_dual_fmac_f32 v152, 0x3f5db3d7, v142 :: v_dual_fmac_f32 v151, 0.5, v121
	ds_load_2addr_b64 v[120:123], v255 offset0:120 offset1:180
	ds_load_2addr_b64 v[124:127], v175 offset0:112 offset1:172
	s_waitcnt lgkmcnt(0)
	s_waitcnt_vscnt null, 0x0
	v_add_f32_e32 v140, v153, v150
	s_barrier
	v_add_f32_e32 v141, v154, v151
	buffer_gl0_inv
	v_mul_u32_u24_e32 v68, 0x8889, v68
	ds_store_2addr_b64 v155, v[136:137], v[140:141] offset1:10
	v_sub_f32_e32 v136, v60, v146
	v_dual_mul_f32 v60, -0.5, v107 :: v_dual_sub_f32 v137, v144, v149
	v_mad_u64_u32 v[146:147], null, v239, 40, s[0:1]
	v_lshrrev_b32_e32 v68, 21, v68
	s_delay_alu instid0(VALU_DEP_3) | instskip(SKIP_1) | instid1(VALU_DEP_3)
	v_fmac_f32_e32 v60, 0x3f5db3d7, v90
	v_mul_f32_e32 v90, -0.5, v90
	v_mul_lo_u16 v68, v68, 60
	s_delay_alu instid0(VALU_DEP_3) | instskip(NEXT) | instid1(VALU_DEP_3)
	v_add_f32_e32 v140, v71, v60
	v_fmac_f32_e32 v90, 0xbf5db3d7, v107
	s_delay_alu instid0(VALU_DEP_1)
	v_add_f32_e32 v141, v152, v90
	ds_store_2addr_b64 v155, v[140:141], v[136:137] offset0:20 offset1:30
	v_dual_sub_f32 v136, v153, v150 :: v_dual_sub_f32 v137, v154, v151
	v_dual_sub_f32 v140, v71, v60 :: v_dual_sub_f32 v141, v152, v90
	v_sub_f32_e32 v60, v97, v112
	v_add_f32_e32 v90, v91, v108
	v_sub_nc_u16 v150, v66, v68
	v_mul_u32_u24_e32 v66, 0x8889, v69
	ds_store_2addr_b64 v155, v[136:137], v[140:141] offset0:40 offset1:50
	v_add_lshl_u32 v140, v46, v47, 3
	v_dual_add_f32 v46, v138, v97 :: v_dual_add_f32 v47, v97, v112
	v_sub_f32_e32 v97, v91, v108
	v_lshrrev_b32_e32 v66, 21, v66
	v_and_b32_e32 v153, 0xff, v64
	s_delay_alu instid0(VALU_DEP_4) | instskip(SKIP_3) | instid1(VALU_DEP_4)
	v_dual_add_f32 v71, v46, v112 :: v_dual_add_f32 v46, v139, v91
	v_add_f32_e32 v91, v95, v113
	v_dual_fmac_f32 v139, -0.5, v90 :: v_dual_add_f32 v90, v74, v92
	v_fma_f32 v136, -0.5, v47, v138
	v_dual_add_f32 v107, v46, v108 :: v_dual_add_f32 v46, v92, v110
	v_sub_f32_e32 v92, v92, v110
	s_delay_alu instid0(VALU_DEP_3) | instskip(SKIP_1) | instid1(VALU_DEP_4)
	v_dual_add_f32 v110, v90, v110 :: v_dual_fmamk_f32 v137, v97, 0x3f5db3d7, v136
	v_fmamk_f32 v138, v60, 0xbf5db3d7, v139
	v_fmac_f32_e32 v74, -0.5, v46
	v_dual_add_f32 v46, v84, v95 :: v_dual_sub_f32 v95, v95, v113
	s_delay_alu instid0(VALU_DEP_4) | instskip(NEXT) | instid1(VALU_DEP_2)
	v_dual_fmac_f32 v84, -0.5, v91 :: v_dual_add_f32 v47, v107, v110
	v_dual_fmac_f32 v139, 0x3f5db3d7, v60 :: v_dual_add_f32 v108, v46, v113
	s_delay_alu instid0(VALU_DEP_3) | instskip(NEXT) | instid1(VALU_DEP_3)
	v_fmamk_f32 v46, v95, 0xbf5db3d7, v74
	v_fmamk_f32 v90, v92, 0x3f5db3d7, v84
	v_fmac_f32_e32 v84, 0xbf5db3d7, v92
	v_fmac_f32_e32 v74, 0x3f5db3d7, v95
	;; [unrolled: 1-line block ×3, first 2 shown]
	v_mul_f32_e32 v112, 0x3f5db3d7, v46
	s_delay_alu instid0(VALU_DEP_4) | instskip(SKIP_2) | instid1(VALU_DEP_4)
	v_dual_mul_f32 v113, 0xbf5db3d7, v90 :: v_dual_mul_f32 v60, -0.5, v84
	v_mul_lo_u16 v66, v66, 60
	v_mul_lo_u16 v64, v150, 40
	v_fmac_f32_e32 v112, 0.5, v90
	s_delay_alu instid0(VALU_DEP_4) | instskip(SKIP_2) | instid1(VALU_DEP_3)
	v_dual_fmac_f32 v113, 0.5, v46 :: v_dual_add_f32 v46, v71, v108
	v_fmac_f32_e32 v60, 0x3f5db3d7, v74
	v_sub_nc_u16 v149, v67, v66
	v_dual_add_f32 v90, v137, v112 :: v_dual_add_f32 v91, v138, v113
	v_and_b32_e32 v64, 0xffff, v64
	s_delay_alu instid0(VALU_DEP_3)
	v_mul_lo_u16 v65, v149, 40
	ds_store_2addr_b64 v140, v[46:47], v[90:91] offset1:10
	v_dual_sub_f32 v46, v71, v108 :: v_dual_mul_f32 v71, -0.5, v74
	v_dual_sub_f32 v47, v107, v110 :: v_dual_add_f32 v90, v136, v60
	v_sub_f32_e32 v74, v93, v109
	v_add_co_u32 v64, s2, s0, v64
	s_delay_alu instid0(VALU_DEP_4) | instskip(NEXT) | instid1(VALU_DEP_1)
	v_dual_fmac_f32 v71, 0xbf5db3d7, v84 :: v_dual_add_f32 v84, v93, v109
	v_add_f32_e32 v91, v139, v71
	s_delay_alu instid0(VALU_DEP_2)
	v_fma_f32 v84, -0.5, v84, v121
	ds_store_2addr_b64 v140, v[90:91], v[46:47] offset0:20 offset1:30
	v_dual_sub_f32 v47, v139, v71 :: v_dual_sub_f32 v46, v136, v60
	v_dual_sub_f32 v90, v137, v112 :: v_dual_sub_f32 v91, v138, v113
	v_sub_f32_e32 v60, v98, v114
	ds_store_2addr_b64 v140, v[90:91], v[46:47] offset0:40 offset1:50
	v_and_b32_e32 v46, 0xffff, v88
	v_add_f32_e32 v88, v80, v94
	v_sub_f32_e32 v91, v96, v115
	v_add_f32_e32 v47, v98, v114
	v_fmamk_f32 v107, v60, 0xbf5db3d7, v84
	v_mul_u32_u24_e32 v46, 60, v46
	v_fmac_f32_e32 v84, 0x3f5db3d7, v60
	s_delay_alu instid0(VALU_DEP_4) | instskip(NEXT) | instid1(VALU_DEP_3)
	v_fma_f32 v97, -0.5, v47, v120
	v_add_lshl_u32 v108, v46, v89, 3
	v_add_f32_e32 v46, v120, v98
	s_delay_alu instid0(VALU_DEP_3) | instskip(SKIP_4) | instid1(VALU_DEP_2)
	v_dual_add_f32 v89, v96, v115 :: v_dual_fmamk_f32 v98, v74, 0x3f5db3d7, v97
	v_fmac_f32_e32 v97, 0xbf5db3d7, v74
	scratch_store_b32 off, v140, off offset:340 ; 4-byte Folded Spill
	v_dual_add_f32 v71, v46, v114 :: v_dual_add_f32 v46, v121, v93
	v_sub_f32_e32 v93, v94, v111
	v_add_f32_e32 v90, v46, v109
	v_add_f32_e32 v46, v94, v111
	;; [unrolled: 1-line block ×3, first 2 shown]
	s_delay_alu instid0(VALU_DEP_2) | instskip(SKIP_1) | instid1(VALU_DEP_3)
	v_fmac_f32_e32 v80, -0.5, v46
	v_dual_add_f32 v46, v79, v96 :: v_dual_fmac_f32 v79, -0.5, v89
	v_add_f32_e32 v47, v90, v94
	s_delay_alu instid0(VALU_DEP_2) | instskip(NEXT) | instid1(VALU_DEP_4)
	v_add_f32_e32 v92, v46, v115
	v_fmamk_f32 v46, v91, 0xbf5db3d7, v80
	s_delay_alu instid0(VALU_DEP_4) | instskip(SKIP_1) | instid1(VALU_DEP_3)
	v_fmamk_f32 v88, v93, 0x3f5db3d7, v79
	v_fmac_f32_e32 v79, 0xbf5db3d7, v93
	v_dual_fmac_f32 v80, 0x3f5db3d7, v91 :: v_dual_mul_f32 v95, 0x3f5db3d7, v46
	s_delay_alu instid0(VALU_DEP_3) | instskip(NEXT) | instid1(VALU_DEP_2)
	v_mul_f32_e32 v96, 0xbf5db3d7, v88
	v_dual_mul_f32 v60, -0.5, v79 :: v_dual_fmac_f32 v95, 0.5, v88
	s_delay_alu instid0(VALU_DEP_2) | instskip(SKIP_1) | instid1(VALU_DEP_3)
	v_fmac_f32_e32 v96, 0.5, v46
	v_add_f32_e32 v46, v71, v92
	v_fmac_f32_e32 v60, 0x3f5db3d7, v80
	s_delay_alu instid0(VALU_DEP_3) | instskip(SKIP_4) | instid1(VALU_DEP_2)
	v_dual_add_f32 v88, v98, v95 :: v_dual_add_f32 v89, v107, v96
	ds_store_2addr_b64 v108, v[46:47], v[88:89] offset1:10
	v_sub_f32_e32 v46, v71, v92
	v_mul_f32_e32 v71, -0.5, v80
	v_sub_f32_e32 v47, v90, v94
	v_fmac_f32_e32 v71, 0xbf5db3d7, v79
	s_delay_alu instid0(VALU_DEP_1)
	v_dual_add_f32 v79, v97, v60 :: v_dual_add_f32 v80, v84, v71
	ds_store_2addr_b64 v108, v[79:80], v[46:47] offset0:20 offset1:30
	v_dual_sub_f32 v46, v98, v95 :: v_dual_sub_f32 v47, v107, v96
	v_dual_sub_f32 v79, v97, v60 :: v_dual_sub_f32 v80, v84, v71
	v_sub_f32_e32 v71, v78, v85
	v_add_f32_e32 v60, v75, v81
	ds_store_2addr_b64 v108, v[46:47], v[79:80] offset0:40 offset1:50
	v_add_f32_e32 v46, v122, v78
	v_add_f32_e32 v47, v78, v85
	v_add_f32_e32 v79, v70, v76
	s_delay_alu instid0(VALU_DEP_3) | instskip(SKIP_2) | instid1(VALU_DEP_4)
	v_add_f32_e32 v74, v46, v85
	v_dual_add_f32 v46, v123, v75 :: v_dual_fmac_f32 v123, -0.5, v60
	v_add_f32_e32 v60, v63, v77
	v_add_f32_e32 v79, v79, v82
	v_sub_f32_e32 v75, v75, v81
	s_delay_alu instid0(VALU_DEP_4)
	v_add_f32_e32 v78, v46, v81
	v_add_f32_e32 v46, v77, v83
	v_sub_f32_e32 v77, v77, v83
	v_add_f32_e32 v80, v60, v83
	v_fmamk_f32 v84, v71, 0xbf5db3d7, v123
	v_fmac_f32_e32 v123, 0x3f5db3d7, v71
	v_fmac_f32_e32 v63, -0.5, v46
	v_add_f32_e32 v46, v76, v82
	v_sub_f32_e32 v76, v76, v82
	s_delay_alu instid0(VALU_DEP_2) | instskip(NEXT) | instid1(VALU_DEP_2)
	v_fmac_f32_e32 v70, -0.5, v46
	v_fmamk_f32 v60, v76, 0x3f5db3d7, v63
	s_delay_alu instid0(VALU_DEP_2) | instskip(NEXT) | instid1(VALU_DEP_2)
	v_dual_fmac_f32 v63, 0xbf5db3d7, v76 :: v_dual_fmamk_f32 v46, v77, 0xbf5db3d7, v70
	v_mul_f32_e32 v82, 0xbf5db3d7, v60
	s_delay_alu instid0(VALU_DEP_2) | instskip(SKIP_1) | instid1(VALU_DEP_4)
	v_dual_fmac_f32 v70, 0x3f5db3d7, v77 :: v_dual_mul_f32 v71, -0.5, v63
	v_sub_f32_e32 v77, v129, v133
	v_mul_f32_e32 v81, 0x3f5db3d7, v46
	s_delay_alu instid0(VALU_DEP_4) | instskip(SKIP_2) | instid1(VALU_DEP_4)
	v_fmac_f32_e32 v82, 0.5, v46
	v_and_b32_e32 v46, 0xffff, v61
	v_fmac_f32_e32 v71, 0x3f5db3d7, v70
	v_dual_mul_f32 v70, -0.5, v70 :: v_dual_fmac_f32 v81, 0.5, v60
	s_delay_alu instid0(VALU_DEP_4) | instskip(NEXT) | instid1(VALU_DEP_4)
	v_add_f32_e32 v61, v84, v82
	v_mul_u32_u24_e32 v46, 60, v46
	s_delay_alu instid0(VALU_DEP_3) | instskip(NEXT) | instid1(VALU_DEP_2)
	v_dual_fmac_f32 v70, 0xbf5db3d7, v63 :: v_dual_sub_f32 v63, v131, v134
	v_add_lshl_u32 v85, v46, v62, 3
	v_fma_f32 v62, -0.5, v47, v122
	v_add_f32_e32 v46, v74, v80
	v_add_f32_e32 v47, v78, v79
	scratch_store_b32 off, v108, off offset:344 ; 4-byte Folded Spill
	v_fmamk_f32 v83, v75, 0x3f5db3d7, v62
	v_fmac_f32_e32 v62, 0xbf5db3d7, v75
	s_delay_alu instid0(VALU_DEP_2)
	v_dual_sub_f32 v75, v130, v135 :: v_dual_add_f32 v60, v83, v81
	ds_store_2addr_b64 v85, v[46:47], v[60:61] offset1:10
	v_sub_f32_e32 v46, v74, v80
	v_sub_f32_e32 v47, v78, v79
	v_dual_add_f32 v60, v62, v71 :: v_dual_add_f32 v61, v123, v70
	ds_store_2addr_b64 v85, v[60:61], v[46:47] offset0:20 offset1:30
	v_dual_sub_f32 v47, v123, v70 :: v_dual_sub_f32 v46, v62, v71
	v_dual_sub_f32 v60, v83, v81 :: v_dual_sub_f32 v61, v84, v82
	v_add_f32_e32 v71, v128, v132
	v_sub_f32_e32 v70, v128, v132
	ds_store_2addr_b64 v85, v[60:61], v[46:47] offset0:40 offset1:50
	v_dual_add_f32 v47, v130, v135 :: v_dual_add_f32 v60, v99, v130
	v_dual_add_f32 v61, v103, v129 :: v_dual_add_f32 v46, v124, v131
	v_fma_f32 v71, -0.5, v71, v125
	s_delay_alu instid0(VALU_DEP_3) | instskip(NEXT) | instid1(VALU_DEP_4)
	v_fmac_f32_e32 v99, -0.5, v47
	v_dual_add_f32 v47, v129, v133 :: v_dual_add_f32 v76, v60, v135
	s_delay_alu instid0(VALU_DEP_4) | instskip(SKIP_1) | instid1(VALU_DEP_4)
	v_add_f32_e32 v62, v46, v134
	v_add_f32_e32 v46, v131, v134
	v_fmamk_f32 v60, v77, 0x3f5db3d7, v99
	s_delay_alu instid0(VALU_DEP_4) | instskip(SKIP_4) | instid1(VALU_DEP_4)
	v_fmac_f32_e32 v103, -0.5, v47
	v_add_f32_e32 v47, v125, v128
	v_add_f32_e32 v78, v61, v133
	v_fmamk_f32 v82, v63, 0xbf5db3d7, v71
	v_dual_mul_f32 v80, 0xbf5db3d7, v60 :: v_dual_fmac_f32 v99, 0xbf5db3d7, v77
	v_add_f32_e32 v74, v47, v132
	v_fmamk_f32 v47, v75, 0xbf5db3d7, v103
	v_fmac_f32_e32 v103, 0x3f5db3d7, v75
	v_fmac_f32_e32 v71, 0x3f5db3d7, v63
	s_delay_alu instid0(VALU_DEP_3) | instskip(SKIP_1) | instid1(VALU_DEP_4)
	v_mul_f32_e32 v79, 0x3f5db3d7, v47
	v_dual_fmac_f32 v80, 0.5, v47 :: v_dual_add_f32 v47, v74, v78
	v_mul_f32_e32 v63, -0.5, v103
	s_delay_alu instid0(VALU_DEP_3)
	v_fmac_f32_e32 v79, 0.5, v60
	v_mad_u16 v60, v72, 60, v73
	v_fma_f32 v72, -0.5, v46, v124
	v_add_f32_e32 v46, v62, v76
	v_add_f32_e32 v61, v82, v80
	v_fmac_f32_e32 v63, 0xbf5db3d7, v99
	v_and_b32_e32 v73, 0xffff, v60
	v_fmamk_f32 v81, v70, 0x3f5db3d7, v72
	v_fmac_f32_e32 v72, 0xbf5db3d7, v70
	v_add_f32_e32 v70, v87, v105
	s_delay_alu instid0(VALU_DEP_3)
	v_dual_add_f32 v60, v81, v79 :: v_dual_lshlrev_b32 v73, 3, v73
	s_clause 0x1
	scratch_store_b32 off, v85, off offset:348
	scratch_store_b32 off, v155, off offset:360
	v_add_f32_e32 v70, v70, v118
	scratch_store_b32 off, v73, off offset:352 ; 4-byte Folded Spill
	ds_store_2addr_b64 v73, v[46:47], v[60:61] offset1:10
	v_sub_f32_e32 v46, v62, v76
	v_dual_mul_f32 v62, -0.5, v99 :: v_dual_sub_f32 v47, v74, v78
	v_add_f32_e32 v61, v71, v63
	s_delay_alu instid0(VALU_DEP_2) | instskip(NEXT) | instid1(VALU_DEP_1)
	v_fmac_f32_e32 v62, 0x3f5db3d7, v103
	v_add_f32_e32 v60, v72, v62
	ds_store_2addr_b64 v73, v[60:61], v[46:47] offset0:20 offset1:30
	v_sub_f32_e32 v60, v72, v62
	v_add_f32_e32 v62, v106, v119
	v_dual_sub_f32 v46, v81, v79 :: v_dual_sub_f32 v47, v82, v80
	v_sub_f32_e32 v61, v71, v63
	v_add_f32_e32 v63, v86, v106
	s_delay_alu instid0(VALU_DEP_4)
	v_fmac_f32_e32 v86, -0.5, v62
	v_add_f32_e32 v62, v105, v118
	v_sub_f32_e32 v72, v106, v119
	ds_store_2addr_b64 v73, v[46:47], v[60:61] offset0:40 offset1:50
	v_dual_add_f32 v47, v127, v102 :: v_dual_add_f32 v46, v102, v116
	v_fmac_f32_e32 v87, -0.5, v62
	v_sub_f32_e32 v73, v105, v118
	v_sub_f32_e32 v61, v104, v117
	s_delay_alu instid0(VALU_DEP_4) | instskip(SKIP_4) | instid1(VALU_DEP_3)
	v_add_f32_e32 v71, v47, v116
	v_fmac_f32_e32 v127, -0.5, v46
	v_dual_fmamk_f32 v47, v72, 0xbf5db3d7, v87 :: v_dual_add_f32 v46, v126, v104
	v_fmamk_f32 v74, v73, 0x3f5db3d7, v86
	v_dual_sub_f32 v62, v102, v116 :: v_dual_add_f32 v63, v63, v119
	v_dual_mul_f32 v75, 0x3f5db3d7, v47 :: v_dual_add_f32 v60, v46, v117
	v_dual_add_f32 v46, v104, v117 :: v_dual_fmamk_f32 v79, v61, 0xbf5db3d7, v127
	s_delay_alu instid0(VALU_DEP_2) | instskip(SKIP_1) | instid1(VALU_DEP_3)
	v_dual_fmac_f32 v86, 0xbf5db3d7, v73 :: v_dual_fmac_f32 v75, 0.5, v74
	v_mul_f32_e32 v74, 0xbf5db3d7, v74
	v_fma_f32 v76, -0.5, v46, v126
	v_fmac_f32_e32 v87, 0x3f5db3d7, v72
	s_delay_alu instid0(VALU_DEP_3) | instskip(SKIP_1) | instid1(VALU_DEP_4)
	v_dual_fmac_f32 v127, 0x3f5db3d7, v61 :: v_dual_fmac_f32 v74, 0.5, v47
	v_mad_u16 v47, v44, 60, v45
	v_fmamk_f32 v78, v62, 0x3f5db3d7, v76
	v_dual_add_f32 v44, v60, v63 :: v_dual_add_f32 v45, v71, v70
	v_mul_f32_e32 v61, -0.5, v87
	s_delay_alu instid0(VALU_DEP_4) | instskip(NEXT) | instid1(VALU_DEP_4)
	v_and_b32_e32 v77, 0xffff, v47
	v_dual_add_f32 v46, v78, v75 :: v_dual_add_f32 v47, v79, v74
	v_fmac_f32_e32 v76, 0xbf5db3d7, v62
	s_delay_alu instid0(VALU_DEP_4) | instskip(NEXT) | instid1(VALU_DEP_4)
	v_fmac_f32_e32 v61, 0xbf5db3d7, v86
	v_lshlrev_b32_e32 v77, 3, v77
	ds_store_2addr_b64 v77, v[44:45], v[46:47] offset1:10
	v_sub_f32_e32 v44, v60, v63
	v_mul_f32_e32 v60, -0.5, v86
	v_sub_f32_e32 v45, v71, v70
	v_add_f32_e32 v47, v127, v61
	scratch_store_b32 off, v77, off offset:356 ; 4-byte Folded Spill
	v_fmac_f32_e32 v60, 0x3f5db3d7, v87
	s_delay_alu instid0(VALU_DEP_1)
	v_add_f32_e32 v46, v76, v60
	ds_store_2addr_b64 v77, v[46:47], v[44:45] offset0:20 offset1:30
	v_dual_sub_f32 v45, v127, v61 :: v_dual_sub_f32 v44, v76, v60
	v_dual_sub_f32 v46, v78, v75 :: v_dual_sub_f32 v47, v79, v74
	ds_store_2addr_b64 v77, v[46:47], v[44:45] offset0:40 offset1:50
	s_waitcnt lgkmcnt(0)
	s_waitcnt_vscnt null, 0x0
	s_barrier
	buffer_gl0_inv
	s_clause 0x1
	global_load_b128 v[44:47], v[146:147], off offset:400
	global_load_b64 v[247:248], v[146:147], off offset:432
	ds_load_2addr_b64 v[60:63], v166 offset0:104 offset1:164
	ds_load_2addr_b64 v[122:125], v255 offset1:60
	s_waitcnt vmcnt(1) lgkmcnt(1)
	v_mul_f32_e32 v70, v61, v45
	v_mul_f32_e32 v161, v60, v45
	;; [unrolled: 1-line block ×3, first 2 shown]
	s_delay_alu instid0(VALU_DEP_3) | instskip(NEXT) | instid1(VALU_DEP_3)
	v_fma_f32 v158, v60, v44, -v70
	v_dual_mul_f32 v60, v63, v45 :: v_dual_fmac_f32 v161, v61, v44
	s_delay_alu instid0(VALU_DEP_3) | instskip(NEXT) | instid1(VALU_DEP_2)
	v_fmac_f32_e32 v152, v63, v44
	v_fma_f32 v151, v62, v44, -v60
	ds_load_2addr_b64 v[60:63], v167 offset0:80 offset1:140
	s_waitcnt lgkmcnt(0)
	v_mul_f32_e32 v70, v61, v47
	v_mul_f32_e32 v75, v60, v47
	;; [unrolled: 1-line block ×3, first 2 shown]
	s_delay_alu instid0(VALU_DEP_3) | instskip(NEXT) | instid1(VALU_DEP_3)
	v_fma_f32 v74, v60, v46, -v70
	v_dual_mul_f32 v60, v63, v47 :: v_dual_fmac_f32 v75, v61, v46
	s_delay_alu instid0(VALU_DEP_3)
	v_fmac_f32_e32 v154, v63, v46
	ds_load_2addr_b64 v[70:73], v168 offset0:56 offset1:116
	v_add_f32_e32 v66, v122, v74
	v_fma_f32 v155, v62, v46, -v60
	global_load_b128 v[60:63], v[146:147], off offset:416
	s_waitcnt vmcnt(0) lgkmcnt(0)
	v_mul_f32_e32 v76, v71, v61
	v_mul_f32_e32 v77, v70, v61
	;; [unrolled: 1-line block ×3, first 2 shown]
	s_delay_alu instid0(VALU_DEP_3) | instskip(NEXT) | instid1(VALU_DEP_3)
	v_fma_f32 v76, v70, v60, -v76
	v_dual_mul_f32 v70, v73, v61 :: v_dual_fmac_f32 v77, v71, v60
	s_delay_alu instid0(VALU_DEP_3) | instskip(NEXT) | instid1(VALU_DEP_3)
	v_fmac_f32_e32 v156, v73, v60
	v_add_f32_e32 v68, v158, v76
	s_delay_alu instid0(VALU_DEP_3)
	v_fma_f32 v157, v72, v60, -v70
	ds_load_2addr_b64 v[70:73], v169 offset0:160 offset1:220
	s_waitcnt lgkmcnt(0)
	v_dual_add_f32 v69, v161, v77 :: v_dual_mul_f32 v78, v71, v63
	v_mul_f32_e32 v79, v70, v63
	v_mul_f32_e32 v159, v72, v63
	s_delay_alu instid0(VALU_DEP_3) | instskip(NEXT) | instid1(VALU_DEP_3)
	v_fma_f32 v78, v70, v62, -v78
	v_dual_mul_f32 v70, v73, v63 :: v_dual_fmac_f32 v79, v71, v62
	s_delay_alu instid0(VALU_DEP_3) | instskip(NEXT) | instid1(VALU_DEP_3)
	v_fmac_f32_e32 v159, v73, v62
	v_add_f32_e32 v178, v66, v78
	s_delay_alu instid0(VALU_DEP_3) | instskip(SKIP_4) | instid1(VALU_DEP_3)
	v_fma_f32 v165, v72, v62, -v70
	ds_load_2addr_b64 v[70:73], v170 offset0:8 offset1:68
	v_add_f32_e32 v67, v74, v78
	v_sub_f32_e32 v177, v74, v78
	v_sub_f32_e32 v181, v75, v79
	v_fma_f32 v184, -0.5, v67, v122
	s_delay_alu instid0(VALU_DEP_1) | instskip(SKIP_4) | instid1(VALU_DEP_2)
	v_fmamk_f32 v188, v181, 0x3f5db3d7, v184
	v_fmac_f32_e32 v184, 0xbf5db3d7, v181
	s_waitcnt lgkmcnt(0)
	v_mul_f32_e32 v80, v71, v248
	v_mul_f32_e32 v162, v72, v248
	v_fma_f32 v80, v70, v247, -v80
	v_mul_f32_e32 v70, v70, v248
	s_delay_alu instid0(VALU_DEP_3) | instskip(NEXT) | instid1(VALU_DEP_3)
	v_fmac_f32_e32 v162, v73, v247
	v_add_f32_e32 v66, v76, v80
	s_delay_alu instid0(VALU_DEP_3) | instskip(SKIP_2) | instid1(VALU_DEP_4)
	v_fmac_f32_e32 v70, v71, v247
	v_sub_f32_e32 v182, v76, v80
	v_add_f32_e32 v187, v68, v80
	v_dual_mul_f32 v71, v73, v248 :: v_dual_fmac_f32 v158, -0.5, v66
	s_delay_alu instid0(VALU_DEP_4) | instskip(SKIP_2) | instid1(VALU_DEP_4)
	v_add_f32_e32 v66, v77, v70
	v_sub_f32_e32 v186, v77, v70
	v_add_f32_e32 v190, v69, v70
	v_fma_f32 v163, v72, v247, -v71
	v_add_f32_e32 v71, v75, v79
	v_dual_fmac_f32 v161, -0.5, v66 :: v_dual_add_f32 v66, v123, v75
	v_fmamk_f32 v68, v186, 0x3f5db3d7, v158
	v_fmac_f32_e32 v158, 0xbf5db3d7, v186
	s_delay_alu instid0(VALU_DEP_4)
	v_fma_f32 v185, -0.5, v71, v123
	v_add_f32_e32 v191, v178, v187
	v_add_f32_e32 v183, v66, v79
	v_fmamk_f32 v66, v182, 0xbf5db3d7, v161
	v_mul_f32_e32 v180, 0xbf5db3d7, v68
	v_fmac_f32_e32 v161, 0x3f5db3d7, v182
	v_mul_f32_e32 v181, -0.5, v158
	v_fmamk_f32 v189, v177, 0xbf5db3d7, v185
	v_mul_f32_e32 v179, 0x3f5db3d7, v66
	v_fmac_f32_e32 v180, 0.5, v66
	v_and_b32_e32 v66, 0xffff, v65
	v_add_co_ci_u32_e64 v65, null, s1, 0, s2
	s_delay_alu instid0(VALU_DEP_4)
	v_fmac_f32_e32 v179, 0.5, v68
	v_mad_u64_u32 v[68:69], null, v176, 40, s[0:1]
	s_clause 0x2
	global_load_b64 v[199:200], v[68:69], off offset:432
	global_load_b128 v[108:111], v[68:69], off offset:400
	global_load_b128 v[88:91], v[68:69], off offset:416
	v_mad_u64_u32 v[68:69], null, v153, 40, s[0:1]
	v_add_co_u32 v66, s2, s0, v66
	s_delay_alu instid0(VALU_DEP_1)
	v_add_co_ci_u32_e64 v67, null, s1, 0, s2
	s_clause 0x8
	global_load_b64 v[201:202], v[68:69], off offset:432
	global_load_b128 v[84:87], v[68:69], off offset:416
	global_load_b128 v[96:99], v[68:69], off offset:400
	global_load_b64 v[197:198], v[64:65], off offset:432
	global_load_b128 v[80:83], v[64:65], off offset:400
	global_load_b128 v[72:75], v[64:65], off offset:416
	;; [unrolled: 3-line block ×3, first 2 shown]
	v_fmac_f32_e32 v181, 0x3f5db3d7, v161
	v_dual_mul_f32 v161, -0.5, v161 :: v_dual_add_f32 v192, v183, v190
	v_dual_add_f32 v193, v188, v179 :: v_dual_add_f32 v194, v189, v180
	v_fmac_f32_e32 v185, 0x3f5db3d7, v177
	s_delay_alu instid0(VALU_DEP_3)
	v_fmac_f32_e32 v161, 0xbf5db3d7, v158
	ds_load_2addr_b64 v[120:123], v255 offset0:120 offset1:180
	ds_load_2addr_b64 v[142:145], v174 offset0:96 offset1:156
	;; [unrolled: 1-line block ×12, first 2 shown]
	s_waitcnt vmcnt(0) lgkmcnt(0)
	s_barrier
	buffer_gl0_inv
	ds_store_2addr_b64 v255, v[191:192], v[193:194] offset1:60
	v_dual_sub_f32 v191, v178, v187 :: v_dual_sub_f32 v192, v183, v190
	v_add_f32_e32 v177, v184, v181
	v_add_f32_e32 v178, v185, v161
	;; [unrolled: 1-line block ×3, first 2 shown]
	s_add_u32 s2, s16, 0x4380
	s_addc_u32 s3, s17, 0
	ds_store_2addr_b64 v255, v[177:178], v[191:192] offset0:120 offset1:180
	v_dual_sub_f32 v177, v188, v179 :: v_dual_sub_f32 v178, v189, v180
	v_sub_f32_e32 v179, v184, v181
	v_sub_f32_e32 v180, v185, v161
	v_add_f32_e32 v161, v155, v165
	v_add_f32_e32 v158, v158, v165
	ds_store_2addr_b64 v175, v[177:178], v[179:180] offset0:112 offset1:172
	v_sub_f32_e32 v177, v155, v165
	v_add_f32_e32 v155, v154, v159
	v_dual_add_f32 v165, v125, v154 :: v_dual_add_f32 v178, v151, v157
	v_dual_add_f32 v179, v152, v156 :: v_dual_sub_f32 v180, v154, v159
	s_delay_alu instid0(VALU_DEP_3) | instskip(SKIP_1) | instid1(VALU_DEP_4)
	v_fmac_f32_e32 v125, -0.5, v155
	v_add_f32_e32 v155, v157, v163
	v_add_f32_e32 v159, v165, v159
	v_sub_f32_e32 v165, v157, v163
	v_dual_add_f32 v163, v178, v163 :: v_dual_sub_f32 v178, v156, v162
	s_delay_alu instid0(VALU_DEP_4) | instskip(SKIP_4) | instid1(VALU_DEP_4)
	v_fmac_f32_e32 v151, -0.5, v155
	v_add_f32_e32 v155, v156, v162
	v_add_f32_e32 v162, v179, v162
	v_fma_f32 v124, -0.5, v161, v124
	v_fmamk_f32 v182, v177, 0xbf5db3d7, v125
	v_dual_fmac_f32 v125, 0x3f5db3d7, v177 :: v_dual_fmac_f32 v152, -0.5, v155
	v_fmamk_f32 v155, v178, 0x3f5db3d7, v151
	s_delay_alu instid0(VALU_DEP_4) | instskip(SKIP_1) | instid1(VALU_DEP_3)
	v_fmamk_f32 v161, v180, 0x3f5db3d7, v124
	v_dual_fmac_f32 v151, 0xbf5db3d7, v178 :: v_dual_fmac_f32 v124, 0xbf5db3d7, v180
	v_dual_fmamk_f32 v154, v165, 0xbf5db3d7, v152 :: v_dual_mul_f32 v181, 0xbf5db3d7, v155
	s_delay_alu instid0(VALU_DEP_1) | instskip(NEXT) | instid1(VALU_DEP_2)
	v_dual_fmac_f32 v152, 0x3f5db3d7, v165 :: v_dual_mul_f32 v179, 0x3f5db3d7, v154
	v_dual_fmac_f32 v181, 0.5, v154 :: v_dual_add_f32 v154, v158, v163
	s_delay_alu instid0(VALU_DEP_2) | instskip(SKIP_1) | instid1(VALU_DEP_2)
	v_fmac_f32_e32 v179, 0.5, v155
	v_add_f32_e32 v155, v159, v162
	v_dual_add_f32 v157, v182, v181 :: v_dual_add_f32 v156, v161, v179
	ds_store_2addr_b64 v166, v[154:155], v[156:157] offset0:104 offset1:164
	v_dual_mul_f32 v156, -0.5, v151 :: v_dual_mul_f32 v157, -0.5, v152
	v_dual_sub_f32 v154, v158, v163 :: v_dual_sub_f32 v155, v159, v162
	v_lshlrev_b32_e32 v159, 3, v176
	s_delay_alu instid0(VALU_DEP_3) | instskip(NEXT) | instid1(VALU_DEP_4)
	v_fmac_f32_e32 v156, 0x3f5db3d7, v152
	v_fmac_f32_e32 v157, 0xbf5db3d7, v151
	s_delay_alu instid0(VALU_DEP_2) | instskip(NEXT) | instid1(VALU_DEP_2)
	v_dual_add_f32 v151, v124, v156 :: v_dual_add_nc_u32 v158, 0x1400, v159
	v_add_f32_e32 v152, v125, v157
	v_dual_sub_f32 v125, v125, v157 :: v_dual_sub_f32 v124, v124, v156
	ds_store_2addr_b64 v174, v[151:152], v[154:155] offset0:96 offset1:156
	v_dual_sub_f32 v151, v161, v179 :: v_dual_sub_f32 v152, v182, v181
	ds_store_2addr_b64 v173, v[151:152], v[124:125] offset0:88 offset1:148
	scratch_store_b64 off, v[199:200], off offset:416 ; 8-byte Folded Spill
	v_mul_f32_e32 v124, v139, v111
	v_mul_f32_e32 v125, v131, v91
	;; [unrolled: 1-line block ×3, first 2 shown]
	scratch_store_b64 off, v[201:202], off offset:424 ; 8-byte Folded Spill
	v_fma_f32 v124, v138, v110, -v124
	v_fma_f32 v125, v130, v90, -v125
	;; [unrolled: 1-line block ×3, first 2 shown]
	v_mul_f32_e32 v130, v130, v91
	scratch_store_b64 off, v[197:198], off offset:408 ; 8-byte Folded Spill
	v_add_f32_e32 v151, v120, v124
	v_add_f32_e32 v152, v124, v125
	v_sub_f32_e32 v154, v124, v125
	v_mul_f32_e32 v124, v135, v89
	v_fmac_f32_e32 v130, v131, v90
	v_add_f32_e32 v151, v151, v125
	v_mul_f32_e32 v125, v127, v200
	v_fma_f32 v152, -0.5, v152, v120
	v_fma_f32 v124, v134, v88, -v124
	v_mul_f32_e32 v134, v134, v89
	s_delay_alu instid0(VALU_DEP_4) | instskip(SKIP_1) | instid1(VALU_DEP_4)
	v_fma_f32 v125, v126, v199, -v125
	v_mul_f32_e32 v126, v126, v200
	v_add_f32_e32 v157, v155, v124
	s_delay_alu instid0(VALU_DEP_4) | instskip(NEXT) | instid1(VALU_DEP_4)
	v_fmac_f32_e32 v134, v135, v88
	v_add_f32_e32 v156, v124, v125
	s_delay_alu instid0(VALU_DEP_4) | instskip(NEXT) | instid1(VALU_DEP_2)
	v_dual_fmac_f32 v126, v127, v199 :: v_dual_mul_f32 v127, v142, v109
	v_fmac_f32_e32 v155, -0.5, v156
	s_delay_alu instid0(VALU_DEP_2) | instskip(NEXT) | instid1(VALU_DEP_3)
	v_add_f32_e32 v135, v134, v126
	v_fmac_f32_e32 v127, v143, v108
	s_delay_alu instid0(VALU_DEP_1) | instskip(SKIP_2) | instid1(VALU_DEP_3)
	v_dual_add_f32 v142, v127, v134 :: v_dual_fmac_f32 v127, -0.5, v135
	v_mul_f32_e32 v135, v138, v111
	v_sub_f32_e32 v134, v134, v126
	v_add_f32_e32 v126, v142, v126
	s_delay_alu instid0(VALU_DEP_3) | instskip(SKIP_1) | instid1(VALU_DEP_2)
	v_fmac_f32_e32 v135, v139, v110
	v_add_f32_e32 v139, v157, v125
	v_dual_add_f32 v131, v121, v135 :: v_dual_sub_f32 v138, v135, v130
	v_add_f32_e32 v135, v135, v130
	s_delay_alu instid0(VALU_DEP_3) | instskip(NEXT) | instid1(VALU_DEP_3)
	v_add_f32_e32 v120, v151, v139
	v_dual_add_f32 v130, v131, v130 :: v_dual_sub_f32 v131, v124, v125
	v_fmamk_f32 v125, v134, 0x3f5db3d7, v155
	s_delay_alu instid0(VALU_DEP_4) | instskip(SKIP_1) | instid1(VALU_DEP_4)
	v_fma_f32 v135, -0.5, v135, v121
	v_fmamk_f32 v156, v138, 0x3f5db3d7, v152
	v_dual_add_f32 v121, v130, v126 :: v_dual_fmamk_f32 v124, v131, 0xbf5db3d7, v127
	s_delay_alu instid0(VALU_DEP_4) | instskip(NEXT) | instid1(VALU_DEP_4)
	v_mul_f32_e32 v143, 0xbf5db3d7, v125
	v_fmamk_f32 v157, v154, 0xbf5db3d7, v135
	v_fmac_f32_e32 v155, 0xbf5db3d7, v134
	s_delay_alu instid0(VALU_DEP_4) | instskip(NEXT) | instid1(VALU_DEP_4)
	v_dual_fmac_f32 v127, 0x3f5db3d7, v131 :: v_dual_mul_f32 v142, 0x3f5db3d7, v124
	v_dual_fmac_f32 v143, 0.5, v124 :: v_dual_fmac_f32 v152, 0xbf5db3d7, v138
	v_fmac_f32_e32 v135, 0x3f5db3d7, v154
	s_delay_alu instid0(VALU_DEP_3) | instskip(NEXT) | instid1(VALU_DEP_3)
	v_dual_mul_f32 v131, v132, v87 :: v_dual_fmac_f32 v142, 0.5, v125
	v_add_f32_e32 v125, v157, v143
	s_delay_alu instid0(VALU_DEP_2) | instskip(NEXT) | instid1(VALU_DEP_3)
	v_fmac_f32_e32 v131, v133, v86
	v_add_f32_e32 v124, v156, v142
	ds_store_2addr_b64 v158, v[120:121], v[124:125] offset0:80 offset1:140
	v_dual_sub_f32 v121, v130, v126 :: v_dual_mul_f32 v126, -0.5, v155
	v_sub_f32_e32 v120, v151, v139
	v_add_nc_u32_e32 v130, 0x1800, v159
	s_delay_alu instid0(VALU_DEP_3) | instskip(NEXT) | instid1(VALU_DEP_1)
	v_fmac_f32_e32 v126, 0x3f5db3d7, v127
	v_dual_mul_f32 v127, -0.5, v127 :: v_dual_add_f32 v124, v152, v126
	s_delay_alu instid0(VALU_DEP_1) | instskip(NEXT) | instid1(VALU_DEP_1)
	v_fmac_f32_e32 v127, 0xbf5db3d7, v155
	v_add_f32_e32 v125, v135, v127
	ds_store_2addr_b64 v130, v[124:125], v[120:121] offset0:72 offset1:132
	v_dual_sub_f32 v120, v156, v142 :: v_dual_sub_f32 v121, v157, v143
	v_dual_sub_f32 v124, v152, v126 :: v_dual_sub_f32 v125, v135, v127
	v_mul_f32_e32 v127, v144, v97
	ds_store_2addr_b64 v130, v[120:121], v[124:125] offset0:192 offset1:252
	v_mul_f32_e32 v130, v133, v87
	v_dual_mul_f32 v120, v145, v97 :: v_dual_mul_f32 v121, v140, v99
	v_mul_f32_e32 v124, v137, v85
	v_mul_f32_e32 v125, v136, v85
	s_delay_alu instid0(VALU_DEP_4)
	v_fma_f32 v130, v132, v86, -v130
	v_mul_f32_e32 v132, v129, v202
	v_fma_f32 v126, v144, v96, -v120
	v_mul_f32_e32 v120, v141, v99
	v_fmac_f32_e32 v121, v141, v98
	v_fma_f32 v124, v136, v84, -v124
	v_fma_f32 v132, v128, v201, -v132
	v_mul_f32_e32 v128, v128, v202
	v_fma_f32 v120, v140, v98, -v120
	v_add_f32_e32 v133, v123, v121
	v_fmac_f32_e32 v125, v137, v84
	v_fmac_f32_e32 v127, v145, v96
	;; [unrolled: 1-line block ×3, first 2 shown]
	v_dual_add_f32 v129, v121, v131 :: v_dual_add_f32 v134, v120, v130
	s_delay_alu instid0(VALU_DEP_3) | instskip(SKIP_1) | instid1(VALU_DEP_3)
	v_dual_add_f32 v135, v126, v124 :: v_dual_add_f32 v136, v127, v125
	v_sub_f32_e32 v137, v121, v131
	v_fmac_f32_e32 v123, -0.5, v129
	v_add_f32_e32 v129, v122, v120
	v_add_f32_e32 v131, v133, v131
	v_sub_f32_e32 v133, v124, v132
	v_fma_f32 v122, -0.5, v134, v122
	v_lshlrev_b32_e32 v141, 3, v153
	v_add_f32_e32 v129, v129, v130
	v_sub_f32_e32 v130, v120, v130
	v_add_f32_e32 v120, v124, v132
	v_add_f32_e32 v132, v135, v132
	v_sub_f32_e32 v135, v125, v128
	v_fmamk_f32 v134, v137, 0x3f5db3d7, v122
	s_delay_alu instid0(VALU_DEP_4)
	v_dual_fmamk_f32 v139, v130, 0xbf5db3d7, v123 :: v_dual_fmac_f32 v126, -0.5, v120
	v_add_f32_e32 v120, v125, v128
	v_add_f32_e32 v128, v136, v128
	v_add_nc_u32_e32 v140, 0x2000, v141
	v_fmac_f32_e32 v122, 0xbf5db3d7, v137
	v_fmamk_f32 v121, v135, 0x3f5db3d7, v126
	v_dual_fmac_f32 v127, -0.5, v120 :: v_dual_fmac_f32 v126, 0xbf5db3d7, v135
	v_fmac_f32_e32 v123, 0x3f5db3d7, v130
	scratch_store_b32 off, v159, off offset:380 ; 4-byte Folded Spill
	v_mul_f32_e32 v138, 0xbf5db3d7, v121
	v_fmamk_f32 v120, v133, 0xbf5db3d7, v127
	s_delay_alu instid0(VALU_DEP_1) | instskip(NEXT) | instid1(VALU_DEP_3)
	v_dual_fmac_f32 v127, 0x3f5db3d7, v133 :: v_dual_mul_f32 v136, 0x3f5db3d7, v120
	v_fmac_f32_e32 v138, 0.5, v120
	v_add_f32_e32 v120, v129, v132
	s_delay_alu instid0(VALU_DEP_3) | instskip(NEXT) | instid1(VALU_DEP_1)
	v_dual_fmac_f32 v136, 0.5, v121 :: v_dual_add_f32 v121, v131, v128
	v_dual_add_f32 v125, v139, v138 :: v_dual_add_f32 v124, v134, v136
	ds_store_2addr_b64 v140, v[120:121], v[124:125] offset0:56 offset1:116
	v_dual_sub_f32 v121, v131, v128 :: v_dual_mul_f32 v128, -0.5, v126
	v_sub_f32_e32 v120, v129, v132
	s_delay_alu instid0(VALU_DEP_2) | instskip(NEXT) | instid1(VALU_DEP_1)
	v_fmac_f32_e32 v128, 0x3f5db3d7, v127
	v_dual_mul_f32 v127, -0.5, v127 :: v_dual_add_f32 v124, v122, v128
	s_delay_alu instid0(VALU_DEP_1) | instskip(NEXT) | instid1(VALU_DEP_1)
	v_fmac_f32_e32 v127, 0xbf5db3d7, v126
	v_add_f32_e32 v125, v123, v127
	ds_store_2addr_b64 v140, v[124:125], v[120:121] offset0:176 offset1:236
	v_dual_sub_f32 v121, v123, v127 :: v_dual_sub_f32 v120, v122, v128
	v_dual_sub_f32 v122, v134, v136 :: v_dual_sub_f32 v123, v139, v138
	v_add_nc_u32_e32 v124, 0x2800, v141
	v_mul_f32_e32 v125, v117, v81
	ds_store_2addr_b64 v124, v[122:123], v[120:121] offset0:40 offset1:100
	v_mul_f32_e32 v120, v113, v83
	v_mul_f32_e32 v121, v101, v75
	;; [unrolled: 1-line block ×3, first 2 shown]
	v_fma_f32 v125, v116, v80, -v125
	s_delay_alu instid0(VALU_DEP_4) | instskip(NEXT) | instid1(VALU_DEP_4)
	v_fma_f32 v120, v112, v82, -v120
	v_fma_f32 v121, v100, v74, -v121
	s_delay_alu instid0(VALU_DEP_4)
	v_fma_f32 v124, v92, v197, -v124
	v_mul_f32_e32 v92, v92, v198
	v_mul_f32_e32 v100, v100, v75
	v_add_f32_e32 v122, v64, v120
	v_add_f32_e32 v123, v120, v121
	v_sub_f32_e32 v120, v120, v121
	v_fmac_f32_e32 v92, v93, v197
	v_fmac_f32_e32 v100, v101, v74
	v_add_f32_e32 v122, v122, v121
	v_mul_f32_e32 v121, v105, v73
	v_fma_f32 v123, -0.5, v123, v64
	s_delay_alu instid0(VALU_DEP_2) | instskip(SKIP_1) | instid1(VALU_DEP_2)
	v_fma_f32 v121, v104, v72, -v121
	v_mul_f32_e32 v104, v104, v73
	v_add_f32_e32 v126, v121, v124
	s_delay_alu instid0(VALU_DEP_2) | instskip(SKIP_1) | instid1(VALU_DEP_3)
	v_dual_fmac_f32 v104, v105, v72 :: v_dual_mul_f32 v105, v116, v81
	v_add_f32_e32 v127, v125, v121
	v_fmac_f32_e32 v125, -0.5, v126
	s_delay_alu instid0(VALU_DEP_3) | instskip(NEXT) | instid1(VALU_DEP_4)
	v_add_f32_e32 v93, v104, v92
	v_fmac_f32_e32 v105, v117, v80
	s_delay_alu instid0(VALU_DEP_1) | instskip(SKIP_2) | instid1(VALU_DEP_2)
	v_dual_add_f32 v116, v105, v104 :: v_dual_fmac_f32 v105, -0.5, v93
	v_mul_f32_e32 v93, v112, v83
	v_sub_f32_e32 v104, v104, v92
	v_dual_add_f32 v116, v116, v92 :: v_dual_fmac_f32 v93, v113, v82
	s_delay_alu instid0(VALU_DEP_2) | instskip(SKIP_2) | instid1(VALU_DEP_4)
	v_fmamk_f32 v117, v104, 0x3f5db3d7, v125
	v_add_f32_e32 v113, v127, v124
	v_fmac_f32_e32 v125, 0xbf5db3d7, v104
	v_add_f32_e32 v101, v65, v93
	v_sub_f32_e32 v112, v93, v100
	s_delay_alu instid0(VALU_DEP_4) | instskip(NEXT) | instid1(VALU_DEP_3)
	v_dual_add_f32 v93, v93, v100 :: v_dual_add_f32 v64, v122, v113
	v_add_f32_e32 v100, v101, v100
	v_sub_f32_e32 v101, v121, v124
	s_delay_alu instid0(VALU_DEP_3) | instskip(SKIP_2) | instid1(VALU_DEP_4)
	v_fma_f32 v124, -0.5, v93, v65
	v_fmamk_f32 v126, v112, 0x3f5db3d7, v123
	v_fmac_f32_e32 v123, 0xbf5db3d7, v112
	v_dual_add_f32 v65, v100, v116 :: v_dual_fmamk_f32 v92, v101, 0xbf5db3d7, v105
	s_delay_alu instid0(VALU_DEP_4) | instskip(SKIP_1) | instid1(VALU_DEP_3)
	v_fmamk_f32 v127, v120, 0xbf5db3d7, v124
	v_dual_fmac_f32 v105, 0x3f5db3d7, v101 :: v_dual_fmac_f32 v124, 0x3f5db3d7, v120
	v_mul_f32_e32 v121, 0x3f5db3d7, v92
	s_delay_alu instid0(VALU_DEP_2) | instskip(NEXT) | instid1(VALU_DEP_2)
	v_mul_f32_e32 v101, -0.5, v105
	v_fmac_f32_e32 v121, 0.5, v117
	v_mul_f32_e32 v117, 0xbf5db3d7, v117
	s_delay_alu instid0(VALU_DEP_3) | instskip(NEXT) | instid1(VALU_DEP_2)
	v_fmac_f32_e32 v101, 0xbf5db3d7, v125
	v_dual_fmac_f32 v117, 0.5, v92 :: v_dual_and_b32 v92, 0xffff, v150
	s_delay_alu instid0(VALU_DEP_1) | instskip(NEXT) | instid1(VALU_DEP_2)
	v_add_f32_e32 v93, v127, v117
	v_dual_add_f32 v92, v126, v121 :: v_dual_lshlrev_b32 v129, 3, v92
	s_clause 0x1
	scratch_store_b32 off, v141, off offset:384
	scratch_store_b32 off, v129, off offset:388
	v_add_nc_u32_e32 v128, 0x2800, v129
	v_add_nc_u32_e32 v104, 0x3000, v129
	ds_store_2addr_b64 v128, v[64:65], v[92:93] offset0:160 offset1:220
	v_dual_sub_f32 v65, v100, v116 :: v_dual_mul_f32 v100, -0.5, v125
	v_sub_f32_e32 v64, v122, v113
	v_add_f32_e32 v93, v124, v101
	s_delay_alu instid0(VALU_DEP_3) | instskip(NEXT) | instid1(VALU_DEP_1)
	v_fmac_f32_e32 v100, 0x3f5db3d7, v105
	v_add_f32_e32 v92, v123, v100
	ds_store_2addr_b64 v104, v[92:93], v[64:65] offset0:24 offset1:84
	v_sub_f32_e32 v64, v126, v121
	v_sub_f32_e32 v65, v127, v117
	v_dual_sub_f32 v92, v123, v100 :: v_dual_sub_f32 v93, v124, v101
	v_mul_f32_e32 v101, v118, v77
	ds_store_2addr_b64 v104, v[64:65], v[92:93] offset0:144 offset1:204
	v_mul_f32_e32 v104, v103, v71
	v_dual_mul_f32 v64, v119, v77 :: v_dual_mul_f32 v65, v114, v79
	v_mul_f32_e32 v92, v107, v69
	v_mul_f32_e32 v93, v106, v69
	s_delay_alu instid0(VALU_DEP_4)
	v_fma_f32 v104, v102, v70, -v104
	v_mul_f32_e32 v102, v102, v71
	v_fma_f32 v100, v118, v76, -v64
	v_mul_f32_e32 v64, v115, v79
	v_fmac_f32_e32 v65, v115, v78
	v_fma_f32 v92, v106, v68, -v92
	v_fmac_f32_e32 v102, v103, v70
	v_mul_f32_e32 v103, v95, v196
	v_fma_f32 v64, v114, v78, -v64
	v_add_f32_e32 v105, v67, v65
	v_fmac_f32_e32 v93, v107, v68
	v_fmac_f32_e32 v101, v119, v76
	v_fma_f32 v103, v94, v195, -v103
	v_mul_f32_e32 v94, v94, v196
	v_add_f32_e32 v106, v64, v104
	s_delay_alu instid0(VALU_DEP_4) | instskip(NEXT) | instid1(VALU_DEP_3)
	v_dual_add_f32 v107, v100, v92 :: v_dual_add_f32 v112, v101, v93
	v_dual_sub_f32 v113, v65, v102 :: v_dual_fmac_f32 v94, v95, v195
	v_add_f32_e32 v95, v65, v102
	v_dual_add_f32 v102, v105, v102 :: v_dual_sub_f32 v105, v92, v103
	s_delay_alu instid0(VALU_DEP_2) | instskip(SKIP_2) | instid1(VALU_DEP_2)
	v_fmac_f32_e32 v67, -0.5, v95
	v_add_f32_e32 v95, v66, v64
	v_fma_f32 v66, -0.5, v106, v66
	v_add_f32_e32 v95, v95, v104
	v_sub_f32_e32 v104, v64, v104
	v_add_f32_e32 v64, v92, v103
	v_add_f32_e32 v103, v107, v103
	v_dual_sub_f32 v107, v93, v94 :: v_dual_and_b32 v92, 0xffff, v149
	v_fmamk_f32 v106, v113, 0x3f5db3d7, v66
	s_delay_alu instid0(VALU_DEP_4) | instskip(SKIP_1) | instid1(VALU_DEP_4)
	v_fmac_f32_e32 v100, -0.5, v64
	v_add_f32_e32 v64, v93, v94
	v_dual_add_f32 v94, v112, v94 :: v_dual_lshlrev_b32 v117, 3, v92
	v_fmamk_f32 v115, v104, 0xbf5db3d7, v67
	s_delay_alu instid0(VALU_DEP_4) | instskip(NEXT) | instid1(VALU_DEP_4)
	v_fmamk_f32 v65, v107, 0x3f5db3d7, v100
	v_dual_fmac_f32 v101, -0.5, v64 :: v_dual_fmac_f32 v100, 0xbf5db3d7, v107
	s_delay_alu instid0(VALU_DEP_4) | instskip(SKIP_1) | instid1(VALU_DEP_4)
	v_add_nc_u32_e32 v116, 0x3800, v117
	v_fmac_f32_e32 v66, 0xbf5db3d7, v113
	v_mul_f32_e32 v114, 0xbf5db3d7, v65
	s_delay_alu instid0(VALU_DEP_4)
	v_fmamk_f32 v64, v105, 0xbf5db3d7, v101
	v_fmac_f32_e32 v101, 0x3f5db3d7, v105
	v_fmac_f32_e32 v67, 0x3f5db3d7, v104
	s_clause 0x1
	scratch_store_b64 off, v[195:196], off offset:396
	scratch_store_b32 off, v117, off offset:404
	v_mul_f32_e32 v112, 0x3f5db3d7, v64
	v_fmac_f32_e32 v114, 0.5, v64
	v_add_f32_e32 v64, v95, v103
	s_delay_alu instid0(VALU_DEP_3) | instskip(NEXT) | instid1(VALU_DEP_1)
	v_dual_fmac_f32 v112, 0.5, v65 :: v_dual_add_f32 v65, v102, v94
	v_dual_add_f32 v93, v115, v114 :: v_dual_add_f32 v92, v106, v112
	ds_store_2addr_b64 v116, v[64:65], v[92:93] offset0:8 offset1:68
	v_dual_sub_f32 v64, v95, v103 :: v_dual_sub_f32 v65, v102, v94
	v_dual_mul_f32 v94, -0.5, v100 :: v_dual_mul_f32 v95, -0.5, v101
	s_delay_alu instid0(VALU_DEP_1) | instskip(NEXT) | instid1(VALU_DEP_1)
	v_fmac_f32_e32 v94, 0x3f5db3d7, v101
	v_dual_fmac_f32 v95, 0xbf5db3d7, v100 :: v_dual_add_f32 v92, v66, v94
	s_delay_alu instid0(VALU_DEP_1)
	v_add_f32_e32 v93, v67, v95
	ds_store_2addr_b64 v116, v[92:93], v[64:65] offset0:128 offset1:188
	v_dual_sub_f32 v65, v67, v95 :: v_dual_sub_f32 v64, v66, v94
	v_dual_sub_f32 v66, v106, v112 :: v_dual_sub_f32 v67, v115, v114
	v_add_nc_u32_e32 v92, 0x3c00, v117
	v_mad_u64_u32 v[116:117], null, v148, 40, s[0:1]
	ds_store_2addr_b64 v92, v[66:67], v[64:65] offset0:120 offset1:180
	s_waitcnt lgkmcnt(0)
	s_waitcnt_vscnt null, 0x0
	s_barrier
	buffer_gl0_inv
	s_clause 0x4
	global_load_b128 v[64:67], v[146:147], off offset:2800
	global_load_b128 v[136:139], v[146:147], off offset:2816
	;; [unrolled: 1-line block ×4, first 2 shown]
	global_load_b64 v[101:102], v[146:147], off offset:2832
	ds_load_2addr_b64 v[92:95], v166 offset0:104 offset1:164
	s_waitcnt vmcnt(4) lgkmcnt(0)
	v_mul_f32_e32 v100, v93, v65
	v_mul_f32_e32 v153, v92, v65
	s_waitcnt vmcnt(2)
	v_mul_f32_e32 v163, v94, v121
	s_waitcnt vmcnt(0)
	scratch_store_b64 off, v[101:102], off offset:432 ; 8-byte Folded Spill
	v_fma_f32 v152, v92, v64, -v100
	v_dual_mul_f32 v92, v95, v121 :: v_dual_fmac_f32 v153, v93, v64
	v_fmac_f32_e32 v163, v95, v120
	s_delay_alu instid0(VALU_DEP_2)
	v_fma_f32 v162, v94, v120, -v92
	ds_load_2addr_b64 v[92:95], v167 offset0:80 offset1:140
	s_waitcnt lgkmcnt(0)
	v_mul_f32_e32 v100, v93, v67
	v_mul_f32_e32 v230, v92, v67
	;; [unrolled: 1-line block ×3, first 2 shown]
	s_delay_alu instid0(VALU_DEP_3) | instskip(SKIP_1) | instid1(VALU_DEP_4)
	v_fma_f32 v216, v92, v66, -v100
	v_mul_f32_e32 v92, v95, v123
	v_fmac_f32_e32 v230, v93, v66
	s_delay_alu instid0(VALU_DEP_4) | instskip(NEXT) | instid1(VALU_DEP_3)
	v_fmac_f32_e32 v200, v95, v122
	v_fma_f32 v201, v94, v122, -v92
	ds_load_2addr_b64 v[92:95], v168 offset0:56 offset1:116
	s_waitcnt lgkmcnt(0)
	v_mul_f32_e32 v100, v93, v137
	v_mul_f32_e32 v232, v92, v137
	;; [unrolled: 1-line block ×3, first 2 shown]
	s_delay_alu instid0(VALU_DEP_3) | instskip(SKIP_1) | instid1(VALU_DEP_3)
	v_fma_f32 v231, v92, v136, -v100
	v_mul_f32_e32 v92, v95, v125
	v_fmac_f32_e32 v204, v95, v124
	s_delay_alu instid0(VALU_DEP_2)
	v_fma_f32 v207, v94, v124, -v92
	v_fmac_f32_e32 v232, v93, v136
	ds_load_2addr_b64 v[92:95], v169 offset0:160 offset1:220
	s_waitcnt lgkmcnt(0)
	v_mul_f32_e32 v100, v93, v139
	v_mul_f32_e32 v234, v92, v139
	;; [unrolled: 1-line block ×3, first 2 shown]
	s_delay_alu instid0(VALU_DEP_3) | instskip(SKIP_1) | instid1(VALU_DEP_4)
	v_fma_f32 v233, v92, v138, -v100
	v_mul_f32_e32 v92, v95, v127
	v_fmac_f32_e32 v234, v93, v138
	s_delay_alu instid0(VALU_DEP_4) | instskip(NEXT) | instid1(VALU_DEP_3)
	v_fmac_f32_e32 v208, v95, v126
	v_fma_f32 v209, v94, v126, -v92
	ds_load_2addr_b64 v[92:95], v170 offset0:8 offset1:68
	s_waitcnt lgkmcnt(0)
	v_mul_f32_e32 v100, v93, v102
	v_mul_f32_e32 v236, v92, v102
	s_delay_alu instid0(VALU_DEP_2) | instskip(NEXT) | instid1(VALU_DEP_2)
	v_fma_f32 v235, v92, v101, -v100
	v_fmac_f32_e32 v236, v93, v101
	global_load_b64 v[100:101], v[116:117], off offset:2832
	s_waitcnt vmcnt(0)
	v_mul_f32_e32 v92, v95, v101
	v_mul_f32_e32 v212, v94, v101
	scratch_store_b64 off, v[100:101], off offset:440 ; 8-byte Folded Spill
	v_fma_f32 v213, v94, v100, -v92
	v_fmac_f32_e32 v212, v95, v100
	v_add_co_u32 v100, s0, 0x1000, v116
	s_delay_alu instid0(VALU_DEP_1)
	v_add_co_ci_u32_e64 v101, s0, 0, v117, s0
	ds_load_2addr_b64 v[92:95], v174 offset0:96 offset1:156
	global_load_b128 v[140:143], v[100:101], off offset:1104
	s_waitcnt vmcnt(0) lgkmcnt(0)
	v_mul_f32_e32 v102, v93, v141
	v_mul_f32_e32 v195, v92, v141
	s_delay_alu instid0(VALU_DEP_2) | instskip(SKIP_4) | instid1(VALU_DEP_2)
	v_fma_f32 v194, v92, v140, -v102
	global_load_b128 v[100:103], v[100:101], off offset:3504
	s_waitcnt vmcnt(0)
	v_dual_fmac_f32 v195, v93, v140 :: v_dual_mul_f32 v92, v95, v101
	v_mul_f32_e32 v155, v94, v101
	v_fma_f32 v154, v94, v100, -v92
	s_delay_alu instid0(VALU_DEP_2)
	v_fmac_f32_e32 v155, v95, v100
	ds_load_2addr_b64 v[92:95], v172 offset0:72 offset1:132
	s_waitcnt lgkmcnt(0)
	v_mul_f32_e32 v104, v93, v143
	v_mul_f32_e32 v198, v92, v143
	;; [unrolled: 1-line block ×3, first 2 shown]
	s_delay_alu instid0(VALU_DEP_3) | instskip(SKIP_1) | instid1(VALU_DEP_1)
	v_fma_f32 v199, v92, v142, -v104
	v_add_co_u32 v104, s0, 0x1450, v116
	v_add_co_ci_u32_e64 v105, s0, 0, v117, s0
	v_mul_f32_e32 v92, v95, v103
	v_fmac_f32_e32 v198, v93, v142
	v_fmac_f32_e32 v179, v95, v102
	global_load_b128 v[132:135], v[104:105], off offset:16
	v_add_co_u32 v106, s0, 0x1db0, v116
	v_fma_f32 v178, v94, v102, -v92
	ds_load_2addr_b64 v[92:95], v168 offset0:176 offset1:236
	v_add_co_ci_u32_e64 v107, s0, 0, v117, s0
	s_waitcnt vmcnt(0) lgkmcnt(0)
	v_mul_f32_e32 v112, v93, v133
	v_mul_f32_e32 v215, v92, v133
	s_delay_alu instid0(VALU_DEP_2) | instskip(SKIP_4) | instid1(VALU_DEP_2)
	v_fma_f32 v214, v92, v132, -v112
	global_load_b128 v[112:115], v[106:107], off offset:16
	s_waitcnt vmcnt(0)
	v_dual_fmac_f32 v215, v93, v132 :: v_dual_mul_f32 v92, v95, v113
	v_mul_f32_e32 v187, v94, v113
	v_fma_f32 v186, v94, v112, -v92
	s_delay_alu instid0(VALU_DEP_2)
	v_fmac_f32_e32 v187, v95, v112
	ds_load_2addr_b64 v[92:95], v171 offset0:24 offset1:84
	s_clause 0x1
	global_load_b64 v[224:225], v[104:105], off offset:32
	global_load_b64 v[222:223], v[106:107], off offset:32
	ds_load_2addr_b64 v[144:147], v169 offset0:40 offset1:100
	s_waitcnt lgkmcnt(1)
	v_mul_f32_e32 v118, v93, v135
	v_mul_f32_e32 v205, v92, v135
	;; [unrolled: 1-line block ×3, first 2 shown]
	s_delay_alu instid0(VALU_DEP_3) | instskip(NEXT) | instid1(VALU_DEP_3)
	v_fma_f32 v206, v92, v134, -v118
	v_dual_mul_f32 v92, v95, v115 :: v_dual_fmac_f32 v205, v93, v134
	s_delay_alu instid0(VALU_DEP_3) | instskip(NEXT) | instid1(VALU_DEP_2)
	v_fmac_f32_e32 v189, v95, v114
	v_fma_f32 v188, v94, v114, -v92
	ds_load_2addr_b64 v[92:95], v170 offset0:128 offset1:188
	s_waitcnt vmcnt(1) lgkmcnt(0)
	v_mul_f32_e32 v104, v93, v225
	v_mul_f32_e32 v211, v92, v225
	s_waitcnt vmcnt(0)
	v_mul_f32_e32 v193, v94, v223
	s_delay_alu instid0(VALU_DEP_3) | instskip(NEXT) | instid1(VALU_DEP_3)
	v_fma_f32 v210, v92, v224, -v104
	v_dual_mul_f32 v92, v95, v223 :: v_dual_fmac_f32 v211, v93, v224
	ds_load_2addr_b64 v[104:107], v173 offset0:88 offset1:148
	v_fmac_f32_e32 v193, v95, v222
	v_fma_f32 v192, v94, v222, -v92
	v_add_co_u32 v92, s0, 0x2000, v116
	s_delay_alu instid0(VALU_DEP_1) | instskip(SKIP_1) | instid1(VALU_DEP_1)
	v_add_co_ci_u32_e64 v93, s0, 0, v117, s0
	v_add_co_u32 v94, s0, 0x3000, v116
	v_add_co_ci_u32_e64 v95, s0, 0, v117, s0
	global_load_b128 v[128:131], v[92:93], off offset:1808
	v_add_co_u32 v148, s0, 0x2710, v116
	s_delay_alu instid0(VALU_DEP_1) | instskip(SKIP_1) | instid1(VALU_DEP_1)
	v_add_co_ci_u32_e64 v149, s0, 0, v117, s0
	v_add_co_u32 v150, s0, 0x3070, v116
	v_add_co_ci_u32_e64 v151, s0, 0, v117, s0
	s_waitcnt vmcnt(0) lgkmcnt(0)
	v_mul_f32_e32 v92, v105, v129
	v_mul_f32_e32 v181, v104, v129
	s_delay_alu instid0(VALU_DEP_2) | instskip(SKIP_4) | instid1(VALU_DEP_2)
	v_fma_f32 v180, v104, v128, -v92
	global_load_b128 v[92:95], v[94:95], off offset:112
	s_waitcnt vmcnt(0)
	v_dual_fmac_f32 v181, v105, v128 :: v_dual_mul_f32 v104, v107, v93
	v_mul_f32_e32 v157, v106, v93
	v_fma_f32 v156, v106, v92, -v104
	s_delay_alu instid0(VALU_DEP_2)
	v_fmac_f32_e32 v157, v107, v92
	ds_load_2addr_b64 v[104:107], v172 offset0:192 offset1:252
	s_waitcnt lgkmcnt(0)
	v_mul_f32_e32 v118, v105, v131
	v_mul_f32_e32 v182, v104, v131
	;; [unrolled: 1-line block ×3, first 2 shown]
	s_delay_alu instid0(VALU_DEP_3) | instskip(SKIP_4) | instid1(VALU_DEP_3)
	v_fma_f32 v183, v104, v130, -v118
	global_load_b128 v[116:119], v[148:149], off offset:16
	v_mul_f32_e32 v104, v107, v95
	v_fmac_f32_e32 v182, v105, v130
	v_fmac_f32_e32 v158, v107, v94
	v_fma_f32 v161, v106, v94, -v104
	s_waitcnt vmcnt(0)
	v_mul_f32_e32 v104, v145, v117
	v_mul_f32_e32 v203, v144, v117
	s_delay_alu instid0(VALU_DEP_2) | instskip(SKIP_4) | instid1(VALU_DEP_2)
	v_fma_f32 v202, v144, v116, -v104
	global_load_b128 v[104:107], v[150:151], off offset:16
	s_waitcnt vmcnt(0)
	v_dual_fmac_f32 v203, v145, v116 :: v_dual_mul_f32 v144, v147, v105
	v_mul_f32_e32 v165, v146, v105
	v_fma_f32 v177, v146, v104, -v144
	s_delay_alu instid0(VALU_DEP_2)
	v_fmac_f32_e32 v165, v147, v104
	ds_load_2addr_b64 v[144:147], v171 offset0:144 offset1:204
	s_clause 0x1
	global_load_b64 v[226:227], v[148:149], off offset:32
	global_load_b64 v[220:221], v[150:151], off offset:32
	v_add_f32_e32 v151, v153, v232
	s_delay_alu instid0(VALU_DEP_1) | instskip(SKIP_3) | instid1(VALU_DEP_2)
	v_add_f32_e32 v151, v151, v236
	s_waitcnt lgkmcnt(0)
	v_mul_f32_e32 v159, v145, v119
	v_mul_f32_e32 v190, v144, v119
	v_fma_f32 v191, v144, v118, -v159
	v_mul_f32_e32 v144, v147, v107
	s_delay_alu instid0(VALU_DEP_3) | instskip(NEXT) | instid1(VALU_DEP_2)
	v_dual_mul_f32 v159, v146, v107 :: v_dual_fmac_f32 v190, v145, v118
	v_fma_f32 v184, v146, v106, -v144
	s_delay_alu instid0(VALU_DEP_2) | instskip(SKIP_3) | instid1(VALU_DEP_1)
	v_fmac_f32_e32 v159, v147, v106
	ds_load_2addr_b64 v[144:147], v219 offset0:120 offset1:180
	s_waitcnt vmcnt(0) lgkmcnt(0)
	v_dual_mul_f32 v197, v144, v227 :: v_dual_mul_f32 v176, v146, v221
	v_fmac_f32_e32 v197, v145, v226
	v_mul_f32_e32 v148, v145, v227
	s_delay_alu instid0(VALU_DEP_3) | instskip(NEXT) | instid1(VALU_DEP_2)
	v_fmac_f32_e32 v176, v147, v220
	v_fma_f32 v196, v144, v226, -v148
	v_mul_f32_e32 v144, v147, v221
	v_add_f32_e32 v150, v152, v231
	s_delay_alu instid0(VALU_DEP_2) | instskip(SKIP_4) | instid1(VALU_DEP_1)
	v_fma_f32 v185, v146, v220, -v144
	ds_load_2addr_b64 v[146:149], v255 offset1:60
	v_add_f32_e32 v150, v150, v235
	s_waitcnt lgkmcnt(0)
	v_dual_add_f32 v144, v146, v216 :: v_dual_add_f32 v145, v147, v230
	v_dual_add_f32 v144, v144, v233 :: v_dual_add_f32 v145, v145, v234
	s_delay_alu instid0(VALU_DEP_1) | instskip(SKIP_2) | instid1(VALU_DEP_4)
	v_add_f32_e32 v217, v144, v150
	v_sub_f32_e32 v228, v144, v150
	v_add_f32_e32 v150, v232, v236
	v_add_f32_e32 v218, v145, v151
	v_dual_sub_f32 v229, v145, v151 :: v_dual_sub_f32 v144, v230, v234
	v_add_f32_e32 v145, v230, v234
	s_delay_alu instid0(VALU_DEP_4) | instskip(SKIP_3) | instid1(VALU_DEP_4)
	v_dual_fmac_f32 v153, -0.5, v150 :: v_dual_add_f32 v150, v231, v235
	v_dual_sub_f32 v234, v231, v235 :: v_dual_add_f32 v151, v216, v233
	v_sub_f32_e32 v232, v232, v236
	v_sub_f32_e32 v216, v216, v233
	v_fmac_f32_e32 v152, -0.5, v150
	s_delay_alu instid0(VALU_DEP_4) | instskip(SKIP_2) | instid1(VALU_DEP_4)
	v_fmamk_f32 v150, v234, 0xbf5db3d7, v153
	v_fma_f32 v146, -0.5, v151, v146
	v_fma_f32 v145, -0.5, v145, v147
	v_dual_fmac_f32 v153, 0x3f5db3d7, v234 :: v_dual_fmamk_f32 v230, v232, 0x3f5db3d7, v152
	s_delay_alu instid0(VALU_DEP_4) | instskip(NEXT) | instid1(VALU_DEP_4)
	v_mul_f32_e32 v231, 0x3f5db3d7, v150
	v_fmamk_f32 v147, v144, 0x3f5db3d7, v146
	v_fmac_f32_e32 v152, 0xbf5db3d7, v232
	s_delay_alu instid0(VALU_DEP_4) | instskip(NEXT) | instid1(VALU_DEP_4)
	v_dual_fmac_f32 v146, 0xbf5db3d7, v144 :: v_dual_mul_f32 v233, 0xbf5db3d7, v230
	v_fmac_f32_e32 v231, 0.5, v230
	s_delay_alu instid0(VALU_DEP_3) | instskip(SKIP_1) | instid1(VALU_DEP_3)
	v_dual_fmamk_f32 v235, v216, 0xbf5db3d7, v145 :: v_dual_mul_f32 v144, -0.5, v152
	v_fmac_f32_e32 v145, 0x3f5db3d7, v216
	v_dual_fmac_f32 v233, 0.5, v150 :: v_dual_add_f32 v150, v147, v231
	v_dual_sub_f32 v230, v147, v231 :: v_dual_mul_f32 v147, -0.5, v153
	s_delay_alu instid0(VALU_DEP_4) | instskip(NEXT) | instid1(VALU_DEP_3)
	v_fmac_f32_e32 v144, 0x3f5db3d7, v153
	v_add_f32_e32 v151, v235, v233
	v_sub_f32_e32 v231, v235, v233
	s_delay_alu instid0(VALU_DEP_4) | instskip(NEXT) | instid1(VALU_DEP_4)
	v_dual_add_f32 v216, v148, v201 :: v_dual_fmac_f32 v147, 0xbf5db3d7, v152
	v_add_f32_e32 v152, v146, v144
	v_sub_f32_e32 v232, v146, v144
	v_sub_f32_e32 v236, v199, v206
	s_delay_alu instid0(VALU_DEP_4)
	v_dual_add_f32 v216, v216, v209 :: v_dual_add_f32 v153, v145, v147
	v_sub_f32_e32 v233, v145, v147
	ds_load_2addr_b64 v[144:147], v255 offset0:120 offset1:180
	ds_store_b64 v255, v[150:151] offset:2880
	ds_store_b64 v255, v[152:153] offset:5760
	ds_load_2addr_b64 v[150:153], v175 offset0:112 offset1:172
	ds_store_b64 v255, v[228:229] offset:8640
	ds_store_b64 v255, v[230:231] offset:11520
	;; [unrolled: 1-line block ×3, first 2 shown]
	v_add_f32_e32 v228, v149, v200
	s_delay_alu instid0(VALU_DEP_1) | instskip(SKIP_1) | instid1(VALU_DEP_1)
	v_add_f32_e32 v230, v228, v208
	v_add_f32_e32 v228, v162, v207
	v_dual_add_f32 v231, v228, v213 :: v_dual_add_f32 v228, v163, v204
	s_delay_alu instid0(VALU_DEP_1) | instskip(NEXT) | instid1(VALU_DEP_1)
	v_add_f32_e32 v232, v228, v212
	v_dual_add_f32 v228, v216, v231 :: v_dual_add_f32 v229, v230, v232
	ds_store_2addr_b64 v255, v[217:218], v[228:229] offset1:60
	v_sub_f32_e32 v217, v216, v231
	v_add_f32_e32 v216, v200, v208
	v_sub_f32_e32 v218, v230, v232
	s_delay_alu instid0(VALU_DEP_2)
	v_dual_add_f32 v228, v194, v214 :: v_dual_fmac_f32 v149, -0.5, v216
	v_add_f32_e32 v216, v204, v212
	ds_store_b64 v255, v[217:218] offset:9120
	v_dual_add_f32 v218, v195, v215 :: v_dual_fmac_f32 v163, -0.5, v216
	v_add_f32_e32 v216, v207, v213
	v_sub_f32_e32 v213, v207, v213
	v_dual_add_f32 v207, v201, v209 :: v_dual_sub_f32 v204, v204, v212
	s_delay_alu instid0(VALU_DEP_3) | instskip(SKIP_1) | instid1(VALU_DEP_4)
	v_dual_sub_f32 v209, v201, v209 :: v_dual_fmac_f32 v162, -0.5, v216
	v_sub_f32_e32 v212, v200, v208
	v_fmamk_f32 v200, v213, 0xbf5db3d7, v163
	s_delay_alu instid0(VALU_DEP_4) | instskip(NEXT) | instid1(VALU_DEP_4)
	v_fma_f32 v148, -0.5, v207, v148
	v_fmamk_f32 v234, v209, 0xbf5db3d7, v149
	v_fmamk_f32 v201, v204, 0x3f5db3d7, v162
	s_delay_alu instid0(VALU_DEP_4) | instskip(NEXT) | instid1(VALU_DEP_4)
	v_dual_fmac_f32 v149, 0x3f5db3d7, v209 :: v_dual_mul_f32 v216, 0x3f5db3d7, v200
	v_fmamk_f32 v233, v212, 0x3f5db3d7, v148
	v_fmac_f32_e32 v163, 0x3f5db3d7, v213
	s_delay_alu instid0(VALU_DEP_4) | instskip(NEXT) | instid1(VALU_DEP_4)
	v_dual_mul_f32 v217, 0xbf5db3d7, v201 :: v_dual_fmac_f32 v162, 0xbf5db3d7, v204
	v_fmac_f32_e32 v216, 0.5, v201
	v_fmac_f32_e32 v148, 0xbf5db3d7, v212
	s_delay_alu instid0(VALU_DEP_3) | instskip(SKIP_1) | instid1(VALU_DEP_2)
	v_dual_mul_f32 v204, -0.5, v163 :: v_dual_fmac_f32 v217, 0.5, v200
	v_add_f32_e32 v200, v215, v211
	v_dual_sub_f32 v215, v215, v211 :: v_dual_fmac_f32 v204, 0xbf5db3d7, v162
	s_delay_alu instid0(VALU_DEP_2) | instskip(SKIP_1) | instid1(VALU_DEP_2)
	v_dual_fmac_f32 v195, -0.5, v200 :: v_dual_add_f32 v200, v214, v210
	v_sub_f32_e32 v214, v214, v210
	v_fmac_f32_e32 v194, -0.5, v200
	s_delay_alu instid0(VALU_DEP_2) | instskip(SKIP_1) | instid1(VALU_DEP_3)
	v_fmamk_f32 v200, v214, 0xbf5db3d7, v195
	v_fmac_f32_e32 v195, 0x3f5db3d7, v214
	v_fmamk_f32 v201, v215, 0x3f5db3d7, v194
	s_delay_alu instid0(VALU_DEP_3) | instskip(NEXT) | instid1(VALU_DEP_3)
	v_mul_f32_e32 v229, 0x3f5db3d7, v200
	v_mul_f32_e32 v209, -0.5, v195
	v_dual_sub_f32 v235, v198, v205 :: v_dual_fmac_f32 v194, 0xbf5db3d7, v215
	s_delay_alu instid0(VALU_DEP_4) | instskip(NEXT) | instid1(VALU_DEP_4)
	v_mul_f32_e32 v230, 0xbf5db3d7, v201
	v_fmac_f32_e32 v229, 0.5, v201
	v_add_f32_e32 v201, v234, v217
	s_delay_alu instid0(VALU_DEP_3) | instskip(SKIP_2) | instid1(VALU_DEP_1)
	v_dual_fmac_f32 v209, 0xbf5db3d7, v194 :: v_dual_fmac_f32 v230, 0.5, v200
	v_add_f32_e32 v200, v199, v206
	s_waitcnt lgkmcnt(8)
	v_fma_f32 v231, -0.5, v200, v144
	v_add_f32_e32 v200, v198, v205
	v_add_f32_e32 v144, v144, v199
	;; [unrolled: 1-line block ×3, first 2 shown]
	s_delay_alu instid0(VALU_DEP_4) | instskip(NEXT) | instid1(VALU_DEP_4)
	v_fmamk_f32 v237, v235, 0x3f5db3d7, v231
	v_fma_f32 v232, -0.5, v200, v145
	v_dual_add_f32 v200, v233, v216 :: v_dual_fmac_f32 v231, 0xbf5db3d7, v235
	s_delay_alu instid0(VALU_DEP_2) | instskip(SKIP_1) | instid1(VALU_DEP_2)
	v_dual_add_f32 v207, v237, v229 :: v_dual_fmamk_f32 v238, v236, 0xbf5db3d7, v232
	v_fmac_f32_e32 v232, 0x3f5db3d7, v236
	v_add_f32_e32 v208, v238, v230
	ds_store_2addr_b64 v166, v[200:201], v[207:208] offset0:164 offset1:224
	v_mul_f32_e32 v207, -0.5, v162
	v_mul_f32_e32 v208, -0.5, v194
	v_dual_sub_f32 v200, v237, v229 :: v_dual_sub_f32 v201, v238, v230
	s_delay_alu instid0(VALU_DEP_3) | instskip(NEXT) | instid1(VALU_DEP_3)
	v_fmac_f32_e32 v207, 0x3f5db3d7, v163
	v_dual_fmac_f32 v208, 0x3f5db3d7, v195 :: v_dual_add_f32 v163, v149, v204
	v_add_f32_e32 v195, v232, v209
	s_delay_alu instid0(VALU_DEP_3) | instskip(NEXT) | instid1(VALU_DEP_3)
	v_add_f32_e32 v162, v148, v207
	v_add_f32_e32 v194, v231, v208
	ds_store_2addr_b64 v172, v[162:163], v[194:195] offset0:12 offset1:72
	v_add_f32_e32 v195, v144, v206
	v_add_f32_e32 v144, v145, v198
	v_dual_sub_f32 v162, v233, v216 :: v_dual_sub_f32 v163, v234, v217
	v_add_nc_u32_e32 v194, 0x2c00, v255
	s_delay_alu instid0(VALU_DEP_3) | instskip(NEXT) | instid1(VALU_DEP_1)
	v_dual_add_f32 v198, v144, v205 :: v_dual_add_f32 v205, v218, v211
	v_dual_sub_f32 v144, v195, v199 :: v_dual_sub_f32 v145, v198, v205
	ds_store_b64 v255, v[144:145] offset:9600
	v_dual_sub_f32 v145, v149, v204 :: v_dual_sub_f32 v144, v148, v207
	v_dual_sub_f32 v148, v231, v208 :: v_dual_sub_f32 v149, v232, v209
	ds_store_2addr_b64 v194, v[162:163], v[200:201] offset0:92 offset1:152
	v_sub_f32_e32 v200, v203, v197
	v_sub_f32_e32 v208, v183, v191
	ds_store_2addr_b64 v170, v[144:145], v[148:149] offset0:68 offset1:128
	v_add_f32_e32 v148, v146, v178
	v_dual_add_f32 v144, v195, v199 :: v_dual_add_f32 v145, v198, v205
	v_sub_f32_e32 v199, v202, v196
	s_delay_alu instid0(VALU_DEP_3) | instskip(SKIP_1) | instid1(VALU_DEP_1)
	v_add_f32_e32 v162, v148, v188
	v_add_f32_e32 v148, v147, v179
	v_dual_add_f32 v163, v148, v189 :: v_dual_add_f32 v148, v154, v186
	s_delay_alu instid0(VALU_DEP_1) | instskip(NEXT) | instid1(VALU_DEP_1)
	v_dual_add_f32 v195, v148, v192 :: v_dual_add_f32 v148, v155, v187
	v_add_f32_e32 v198, v148, v193
	s_delay_alu instid0(VALU_DEP_1) | instskip(SKIP_2) | instid1(VALU_DEP_1)
	v_dual_add_f32 v148, v162, v195 :: v_dual_add_f32 v149, v163, v198
	ds_store_2addr_b64 v255, v[144:145], v[148:149] offset0:120 offset1:180
	v_add_f32_e32 v144, v179, v189
	v_fmac_f32_e32 v147, -0.5, v144
	v_add_f32_e32 v144, v186, v192
	v_sub_f32_e32 v186, v186, v192
	v_sub_f32_e32 v192, v178, v188
	s_delay_alu instid0(VALU_DEP_3) | instskip(SKIP_4) | instid1(VALU_DEP_3)
	v_fmac_f32_e32 v154, -0.5, v144
	v_add_f32_e32 v144, v187, v193
	v_sub_f32_e32 v187, v187, v193
	v_add_f32_e32 v193, v180, v202
	v_dual_sub_f32 v207, v182, v190 :: v_dual_fmamk_f32 v204, v192, 0xbf5db3d7, v147
	v_dual_fmac_f32 v155, -0.5, v144 :: v_dual_fmamk_f32 v148, v187, 0x3f5db3d7, v154
	v_add_f32_e32 v144, v178, v188
	v_dual_sub_f32 v178, v179, v189 :: v_dual_add_f32 v189, v181, v203
	s_delay_alu instid0(VALU_DEP_3) | instskip(SKIP_3) | instid1(VALU_DEP_4)
	v_dual_fmamk_f32 v145, v186, 0xbf5db3d7, v155 :: v_dual_mul_f32 v188, 0xbf5db3d7, v148
	v_fmac_f32_e32 v155, 0x3f5db3d7, v186
	v_fmac_f32_e32 v154, 0xbf5db3d7, v187
	v_fma_f32 v146, -0.5, v144, v146
	v_mul_f32_e32 v179, 0x3f5db3d7, v145
	v_fmac_f32_e32 v188, 0.5, v145
	v_dual_add_f32 v145, v203, v197 :: v_dual_mul_f32 v186, -0.5, v155
	s_delay_alu instid0(VALU_DEP_4) | instskip(NEXT) | instid1(VALU_DEP_4)
	v_fmamk_f32 v203, v178, 0x3f5db3d7, v146
	v_fmac_f32_e32 v179, 0.5, v148
	v_fmac_f32_e32 v147, 0x3f5db3d7, v192
	s_delay_alu instid0(VALU_DEP_4) | instskip(SKIP_4) | instid1(VALU_DEP_4)
	v_fmac_f32_e32 v181, -0.5, v145
	v_dual_add_f32 v145, v202, v196 :: v_dual_fmac_f32 v186, 0xbf5db3d7, v154
	v_mul_f32_e32 v154, -0.5, v154
	v_add_f32_e32 v144, v203, v179
	v_fmac_f32_e32 v146, 0xbf5db3d7, v178
	v_dual_fmac_f32 v180, -0.5, v145 :: v_dual_fmamk_f32 v145, v199, 0xbf5db3d7, v181
	s_delay_alu instid0(VALU_DEP_4) | instskip(SKIP_2) | instid1(VALU_DEP_4)
	v_fmac_f32_e32 v154, 0x3f5db3d7, v155
	v_fmac_f32_e32 v181, 0x3f5db3d7, v199
	v_add_nc_u32_e32 v178, 0x2400, v255
	v_dual_fmamk_f32 v148, v200, 0x3f5db3d7, v180 :: v_dual_mul_f32 v201, 0x3f5db3d7, v145
	v_fmac_f32_e32 v180, 0xbf5db3d7, v200
	s_delay_alu instid0(VALU_DEP_2) | instskip(NEXT) | instid1(VALU_DEP_3)
	v_mul_f32_e32 v202, 0xbf5db3d7, v148
	v_dual_fmac_f32 v201, 0.5, v148 :: v_dual_add_f32 v148, v183, v191
	s_delay_alu instid0(VALU_DEP_2) | instskip(SKIP_2) | instid1(VALU_DEP_3)
	v_dual_mul_f32 v155, -0.5, v180 :: v_dual_fmac_f32 v202, 0.5, v145
	v_add_f32_e32 v145, v204, v188
	s_waitcnt lgkmcnt(11)
	v_fma_f32 v205, -0.5, v148, v150
	s_delay_alu instid0(VALU_DEP_3) | instskip(SKIP_1) | instid1(VALU_DEP_3)
	v_dual_add_f32 v148, v182, v190 :: v_dual_fmac_f32 v155, 0x3f5db3d7, v181
	v_mul_f32_e32 v181, -0.5, v181
	v_fmamk_f32 v209, v207, 0x3f5db3d7, v205
	s_delay_alu instid0(VALU_DEP_3) | instskip(SKIP_1) | instid1(VALU_DEP_3)
	v_fma_f32 v206, -0.5, v148, v151
	v_fmac_f32_e32 v205, 0xbf5db3d7, v207
	v_dual_fmac_f32 v181, 0xbf5db3d7, v180 :: v_dual_add_f32 v148, v209, v201
	s_delay_alu instid0(VALU_DEP_3) | instskip(NEXT) | instid1(VALU_DEP_1)
	v_fmamk_f32 v210, v208, 0xbf5db3d7, v206
	v_dual_fmac_f32 v206, 0x3f5db3d7, v208 :: v_dual_add_f32 v149, v210, v202
	ds_store_2addr_b64 v173, v[144:145], v[148:149] offset0:28 offset1:88
	v_add_f32_e32 v145, v147, v186
	v_add_f32_e32 v144, v146, v154
	v_dual_add_f32 v148, v205, v155 :: v_dual_add_f32 v149, v206, v181
	ds_store_2addr_b64 v172, v[144:145], v[148:149] offset0:132 offset1:192
	v_add_f32_e32 v148, v150, v183
	v_dual_sub_f32 v144, v162, v195 :: v_dual_sub_f32 v145, v163, v198
	v_add_f32_e32 v162, v193, v196
	s_delay_alu instid0(VALU_DEP_3) | instskip(SKIP_1) | instid1(VALU_DEP_1)
	v_dual_add_f32 v163, v189, v197 :: v_dual_add_f32 v150, v148, v191
	v_add_f32_e32 v148, v151, v182
	v_add_f32_e32 v151, v148, v190
	s_delay_alu instid0(VALU_DEP_3) | instskip(NEXT) | instid1(VALU_DEP_2)
	v_sub_f32_e32 v148, v150, v162
	v_dual_add_f32 v162, v150, v162 :: v_dual_sub_f32 v149, v151, v163
	v_add_f32_e32 v163, v151, v163
	v_add_f32_e32 v151, v157, v165
	ds_store_2addr_b64 v178, v[144:145], v[148:149] offset0:108 offset1:168
	v_dual_sub_f32 v144, v203, v179 :: v_dual_sub_f32 v145, v204, v188
	v_dual_sub_f32 v148, v209, v201 :: v_dual_sub_f32 v149, v210, v202
	v_add_f32_e32 v151, v151, v176
	ds_store_2addr_b64 v171, v[144:145], v[148:149] offset0:84 offset1:144
	v_sub_f32_e32 v145, v147, v186
	v_sub_f32_e32 v144, v146, v154
	v_dual_sub_f32 v146, v205, v155 :: v_dual_sub_f32 v147, v206, v181
	v_add_f32_e32 v148, v177, v185
	v_sub_f32_e32 v149, v177, v185
	ds_store_2addr_b64 v170, v[144:145], v[146:147] offset0:188 offset1:248
	v_dual_add_f32 v144, v158, v159 :: v_dual_add_f32 v145, v153, v158
	v_sub_f32_e32 v146, v161, v184
	v_add_f32_e32 v147, v161, v184
	s_delay_alu instid0(VALU_DEP_3) | instskip(NEXT) | instid1(VALU_DEP_4)
	v_dual_fmac_f32 v153, -0.5, v144 :: v_dual_add_f32 v144, v152, v161
	v_add_f32_e32 v145, v145, v159
	s_delay_alu instid0(VALU_DEP_2) | instskip(SKIP_1) | instid1(VALU_DEP_1)
	v_fmamk_f32 v161, v146, 0xbf5db3d7, v153
	v_dual_fmac_f32 v153, 0x3f5db3d7, v146 :: v_dual_add_f32 v146, v165, v176
	v_dual_add_f32 v144, v144, v184 :: v_dual_fmac_f32 v157, -0.5, v146
	v_add_f32_e32 v146, v156, v177
	v_fmac_f32_e32 v156, -0.5, v148
	v_sub_f32_e32 v148, v165, v176
	v_fma_f32 v177, -0.5, v147, v152
	v_fmamk_f32 v155, v149, 0xbf5db3d7, v157
	v_fmac_f32_e32 v157, 0x3f5db3d7, v149
	s_delay_alu instid0(VALU_DEP_4) | instskip(SKIP_1) | instid1(VALU_DEP_3)
	v_dual_add_f32 v146, v146, v185 :: v_dual_fmamk_f32 v165, v148, 0x3f5db3d7, v156
	v_fmac_f32_e32 v156, 0xbf5db3d7, v148
	v_mul_f32_e32 v148, -0.5, v157
	s_delay_alu instid0(VALU_DEP_3) | instskip(SKIP_1) | instid1(VALU_DEP_4)
	v_sub_f32_e32 v150, v144, v146
	v_add_f32_e32 v152, v144, v146
	v_mul_f32_e32 v146, -0.5, v156
	s_delay_alu instid0(VALU_DEP_4) | instskip(NEXT) | instid1(VALU_DEP_1)
	v_fmac_f32_e32 v148, 0xbf5db3d7, v156
	v_dual_fmac_f32 v146, 0x3f5db3d7, v157 :: v_dual_add_f32 v149, v153, v148
	v_dual_sub_f32 v147, v153, v148 :: v_dual_sub_f32 v148, v158, v159
	s_delay_alu instid0(VALU_DEP_1) | instskip(NEXT) | instid1(VALU_DEP_1)
	v_dual_mul_f32 v153, 0x3f5db3d7, v155 :: v_dual_fmamk_f32 v158, v148, 0x3f5db3d7, v177
	v_fmac_f32_e32 v153, 0.5, v165
	s_delay_alu instid0(VALU_DEP_1) | instskip(SKIP_3) | instid1(VALU_DEP_4)
	v_dual_fmac_f32 v177, 0xbf5db3d7, v148 :: v_dual_add_f32 v154, v158, v153
	v_dual_sub_f32 v144, v158, v153 :: v_dual_add_f32 v153, v145, v151
	v_sub_f32_e32 v151, v145, v151
	v_mul_f32_e32 v145, 0xbf5db3d7, v165
	v_dual_add_f32 v148, v177, v146 :: v_dual_lshlrev_b32 v165, 3, v239
	v_sub_f32_e32 v146, v177, v146
	ds_store_2addr_b64 v175, v[162:163], v[152:153] offset0:112 offset1:172
	v_fmac_f32_e32 v145, 0.5, v155
	s_delay_alu instid0(VALU_DEP_1)
	v_add_f32_e32 v155, v161, v145
	v_sub_f32_e32 v145, v161, v145
	ds_store_b64 v255, v[154:155] offset:5280
	ds_store_b64 v255, v[148:149] offset:8160
	;; [unrolled: 1-line block ×5, first 2 shown]
	s_waitcnt lgkmcnt(0)
	s_waitcnt_vscnt null, 0x0
	s_barrier
	buffer_gl0_inv
	global_load_b64 v[161:162], v165, s[2:3]
	ds_load_2addr_b64 v[156:159], v255 offset1:60
	scratch_store_b32 off, v239, off offset:32 ; 4-byte Folded Spill
	s_waitcnt vmcnt(0) lgkmcnt(0)
	v_mul_f32_e32 v163, v157, v162
	v_mul_f32_e32 v177, v156, v162
	s_delay_alu instid0(VALU_DEP_2) | instskip(NEXT) | instid1(VALU_DEP_2)
	v_fma_f32 v176, v156, v161, -v163
	v_fmac_f32_e32 v177, v157, v161
	global_load_b64 v[156:157], v165, s[2:3] offset:480
	ds_store_b64 v255, v[176:177]
	ds_load_2addr_b64 v[179:182], v172 offset0:96 offset1:156
	s_waitcnt vmcnt(0)
	v_mul_f32_e32 v161, v159, v157
	v_mul_f32_e32 v184, v158, v157
	s_delay_alu instid0(VALU_DEP_2)
	v_fma_f32 v183, v158, v156, -v161
	global_load_b64 v[161:162], v165, s[2:3] offset:3456
	v_fmac_f32_e32 v184, v159, v156
	ds_load_2addr_b64 v[156:159], v166 offset0:176 offset1:236
	s_waitcnt vmcnt(0) lgkmcnt(0)
	v_mul_f32_e32 v163, v157, v162
	v_mul_f32_e32 v186, v156, v162
	v_add_co_u32 v162, s0, s2, v165
	s_delay_alu instid0(VALU_DEP_3) | instskip(NEXT) | instid1(VALU_DEP_3)
	v_fma_f32 v185, v156, v161, -v163
	v_fmac_f32_e32 v186, v157, v161
	global_load_b64 v[156:157], v165, s[2:3] offset:3936
	v_add_co_ci_u32_e64 v163, null, s3, 0, s0
	s_waitcnt vmcnt(0)
	v_mul_f32_e32 v161, v159, v157
	v_mul_f32_e32 v188, v158, v157
	s_delay_alu instid0(VALU_DEP_2) | instskip(SKIP_1) | instid1(VALU_DEP_3)
	v_fma_f32 v187, v158, v156, -v161
	v_add_co_u32 v158, s0, 0x1000, v162
	v_fmac_f32_e32 v188, v159, v156
	v_add_co_ci_u32_e64 v159, s0, 0, v163, s0
	global_load_b64 v[156:157], v[158:159], off offset:2816
	s_waitcnt vmcnt(0)
	v_mul_f32_e32 v161, v180, v157
	v_mul_f32_e32 v190, v179, v157
	s_delay_alu instid0(VALU_DEP_2) | instskip(NEXT) | instid1(VALU_DEP_2)
	v_fma_f32 v189, v179, v156, -v161
	v_fmac_f32_e32 v190, v180, v156
	global_load_b64 v[156:157], v[158:159], off offset:3296
	s_waitcnt vmcnt(0)
	v_mul_f32_e32 v161, v182, v157
	v_mul_f32_e32 v192, v181, v157
	s_delay_alu instid0(VALU_DEP_2) | instskip(NEXT) | instid1(VALU_DEP_2)
	v_fma_f32 v191, v181, v156, -v161
	v_fmac_f32_e32 v192, v182, v156
	v_add_co_u32 v156, s0, 0x2000, v162
	s_delay_alu instid0(VALU_DEP_1)
	v_add_co_ci_u32_e64 v157, s0, 0, v163, s0
	ds_load_2addr_b64 v[179:182], v169 offset0:16 offset1:76
	global_load_b64 v[176:177], v[156:157], off offset:2176
	s_waitcnt vmcnt(0) lgkmcnt(0)
	v_mul_f32_e32 v161, v180, v177
	v_mul_f32_e32 v196, v179, v177
	s_delay_alu instid0(VALU_DEP_2) | instskip(NEXT) | instid1(VALU_DEP_2)
	v_fma_f32 v195, v179, v176, -v161
	v_fmac_f32_e32 v196, v180, v176
	global_load_b64 v[176:177], v[156:157], off offset:2656
	s_waitcnt vmcnt(0)
	v_mul_f32_e32 v161, v182, v177
	v_mul_f32_e32 v198, v181, v177
	s_delay_alu instid0(VALU_DEP_2)
	v_fma_f32 v197, v181, v176, -v161
	global_load_b64 v[160:161], v160, s[2:3]
	v_fmac_f32_e32 v198, v182, v176
	ds_load_2addr_b64 v[179:182], v171 offset0:192 offset1:252
	s_waitcnt vmcnt(0) lgkmcnt(0)
	v_mul_f32_e32 v176, v180, v161
	v_mul_f32_e32 v200, v179, v161
	s_delay_alu instid0(VALU_DEP_2) | instskip(NEXT) | instid1(VALU_DEP_2)
	v_fma_f32 v199, v179, v160, -v176
	v_fmac_f32_e32 v200, v180, v160
	v_add_co_u32 v160, s0, 0x3000, v162
	s_delay_alu instid0(VALU_DEP_1) | instskip(SKIP_4) | instid1(VALU_DEP_2)
	v_add_co_ci_u32_e64 v161, s0, 0, v163, s0
	global_load_b64 v[176:177], v[160:161], off offset:2016
	s_waitcnt vmcnt(0)
	v_mul_f32_e32 v179, v182, v177
	v_mul_f32_e32 v202, v181, v177
	v_fma_f32 v201, v181, v176, -v179
	s_delay_alu instid0(VALU_DEP_2)
	v_fmac_f32_e32 v202, v182, v176
	global_load_b64 v[176:177], v165, s[2:3] offset:1728
	ds_load_2addr_b64 v[179:182], v255 offset0:120 offset1:216
	s_waitcnt vmcnt(0) lgkmcnt(0)
	v_mul_f32_e32 v193, v182, v177
	v_mul_f32_e32 v204, v181, v177
	s_delay_alu instid0(VALU_DEP_2) | instskip(NEXT) | instid1(VALU_DEP_2)
	v_fma_f32 v203, v181, v176, -v193
	v_fmac_f32_e32 v204, v182, v176
	global_load_b64 v[176:177], v165, s[2:3] offset:960
	s_waitcnt vmcnt(0)
	v_mul_f32_e32 v181, v180, v177
	v_mul_f32_e32 v206, v179, v177
	s_delay_alu instid0(VALU_DEP_2) | instskip(NEXT) | instid1(VALU_DEP_2)
	v_fma_f32 v205, v179, v176, -v181
	v_fmac_f32_e32 v206, v180, v176
	global_load_b64 v[176:177], v165, s[2:3] offset:2208
	ds_load_2addr_b64 v[179:182], v166 offset0:20 offset1:80
	s_waitcnt vmcnt(0) lgkmcnt(0)
	v_mul_f32_e32 v193, v180, v177
	v_mul_f32_e32 v208, v179, v177
	s_delay_alu instid0(VALU_DEP_2) | instskip(NEXT) | instid1(VALU_DEP_2)
	v_fma_f32 v207, v179, v176, -v193
	v_fmac_f32_e32 v208, v180, v176
	global_load_b64 v[176:177], v165, s[2:3] offset:2688
	s_waitcnt vmcnt(0)
	v_mul_f32_e32 v165, v182, v177
	v_mul_f32_e32 v210, v181, v177
	s_delay_alu instid0(VALU_DEP_2) | instskip(NEXT) | instid1(VALU_DEP_2)
	v_fma_f32 v209, v181, v176, -v165
	v_fmac_f32_e32 v210, v182, v176
	global_load_b64 v[176:177], v[158:159], off offset:1088
	ds_load_2addr_b64 v[179:182], v173 offset0:40 offset1:136
	s_waitcnt vmcnt(0) lgkmcnt(0)
	v_mul_f32_e32 v165, v182, v177
	v_mul_f32_e32 v212, v181, v177
	s_delay_alu instid0(VALU_DEP_2) | instskip(NEXT) | instid1(VALU_DEP_2)
	v_fma_f32 v211, v181, v176, -v165
	v_fmac_f32_e32 v212, v182, v176
	global_load_b64 v[176:177], v[158:159], off offset:320
	s_waitcnt vmcnt(0)
	v_mul_f32_e32 v165, v180, v177
	v_mul_f32_e32 v214, v179, v177
	s_delay_alu instid0(VALU_DEP_2) | instskip(NEXT) | instid1(VALU_DEP_2)
	v_fma_f32 v213, v179, v176, -v165
	v_fmac_f32_e32 v214, v180, v176
	global_load_b64 v[176:177], v[158:159], off offset:1568
	ds_load_2addr_b64 v[179:182], v167 offset0:68 offset1:128
	s_waitcnt vmcnt(0) lgkmcnt(0)
	v_mul_f32_e32 v165, v180, v177
	v_mul_f32_e32 v218, v179, v177
	s_delay_alu instid0(VALU_DEP_2)
	v_fma_f32 v217, v179, v176, -v165
	global_load_b64 v[164:165], v164, s[2:3]
	v_fmac_f32_e32 v218, v180, v176
	s_waitcnt vmcnt(0)
	v_mul_f32_e32 v176, v182, v165
	v_mul_f32_e32 v229, v181, v165
	s_delay_alu instid0(VALU_DEP_2) | instskip(NEXT) | instid1(VALU_DEP_2)
	v_fma_f32 v228, v181, v164, -v176
	v_fmac_f32_e32 v229, v182, v164
	global_load_b64 v[164:165], v[156:157], off offset:448
	v_add_nc_u32_e32 v176, 0x1c00, v255
	ds_load_2addr_b64 v[179:182], v176 offset0:88 offset1:184
	s_waitcnt vmcnt(0) lgkmcnt(0)
	v_mul_f32_e32 v177, v182, v165
	v_mul_f32_e32 v231, v181, v165
	s_delay_alu instid0(VALU_DEP_2) | instskip(NEXT) | instid1(VALU_DEP_2)
	v_fma_f32 v230, v181, v164, -v177
	v_fmac_f32_e32 v231, v182, v164
	global_load_b64 v[164:165], v[158:159], off offset:3776
	s_waitcnt vmcnt(0)
	v_mul_f32_e32 v177, v180, v165
	v_mul_f32_e32 v233, v179, v165
	s_delay_alu instid0(VALU_DEP_2) | instskip(NEXT) | instid1(VALU_DEP_2)
	v_fma_f32 v232, v179, v164, -v177
	v_fmac_f32_e32 v233, v180, v164
	global_load_b64 v[164:165], v[156:157], off offset:928
	ds_load_2addr_b64 v[179:182], v168 offset0:116 offset1:176
	s_waitcnt vmcnt(0) lgkmcnt(0)
	v_mul_f32_e32 v177, v180, v165
	v_mul_f32_e32 v235, v179, v165
	s_delay_alu instid0(VALU_DEP_2) | instskip(NEXT) | instid1(VALU_DEP_2)
	v_fma_f32 v234, v179, v164, -v177
	v_fmac_f32_e32 v235, v180, v164
	global_load_b64 v[164:165], v[156:157], off offset:1408
	s_waitcnt vmcnt(0)
	v_mul_f32_e32 v177, v182, v165
	v_mul_f32_e32 v237, v181, v165
	s_delay_alu instid0(VALU_DEP_2) | instskip(NEXT) | instid1(VALU_DEP_2)
	v_fma_f32 v236, v181, v164, -v177
	v_fmac_f32_e32 v237, v182, v164
	global_load_b64 v[164:165], v[156:157], off offset:3904
	;; [unrolled: 15-line block ×5, first 2 shown]
	ds_load_2addr_b64 v[179:182], v219 offset0:84 offset1:144
	s_waitcnt vmcnt(0) lgkmcnt(0)
	v_mul_f32_e32 v177, v180, v165
	v_mul_f32_e32 v254, v179, v165
	s_delay_alu instid0(VALU_DEP_2) | instskip(NEXT) | instid1(VALU_DEP_2)
	v_fma_f32 v253, v179, v164, -v177
	v_fmac_f32_e32 v254, v180, v164
	v_add_co_u32 v164, s0, 0x4000, v162
	s_delay_alu instid0(VALU_DEP_1)
	v_add_co_ci_u32_e64 v165, s0, 0, v163, s0
	global_load_b64 v[179:180], v[164:165], off offset:128
	ds_store_2addr_b64 v175, v[203:204], v[207:208] offset0:88 offset1:148
	ds_store_2addr_b64 v194, v[238:239], v[242:243] offset0:104 offset1:164
	;; [unrolled: 1-line block ×4, first 2 shown]
	s_waitcnt vmcnt(0)
	v_dual_mul_f32 v177, v182, v180 :: v_dual_add_nc_u32 v174, 0x3400, v255
	v_mul_f32_e32 v216, v181, v180
	s_delay_alu instid0(VALU_DEP_2) | instskip(NEXT) | instid1(VALU_DEP_2)
	v_fma_f32 v215, v181, v179, -v177
	v_fmac_f32_e32 v216, v182, v179
	ds_store_2addr_b64 v174, v[201:202], v[251:252] offset0:124 offset1:184
	ds_store_2addr_b64 v173, v[211:212], v[217:218] offset0:136 offset1:196
	;; [unrolled: 1-line block ×6, first 2 shown]
	ds_store_2addr_b64 v172, v[228:229], v[189:190] offset1:96
	ds_store_2addr_b64 v172, v[191:192], v[232:233] offset0:156 offset1:216
	ds_store_2addr_b64 v169, v[197:198], v[240:241] offset0:76 offset1:136
	;; [unrolled: 1-line block ×3, first 2 shown]
	ds_store_b64 v255, v[215:216] offset:16512
	s_and_saveexec_b32 s0, vcc_lo
	s_cbranch_execz .LBB0_9
; %bb.8:
	s_clause 0x9
	global_load_b64 v[174:175], v[162:163], off offset:1440
	global_load_b64 v[162:163], v[162:163], off offset:3168
	;; [unrolled: 1-line block ×10, first 2 shown]
	v_add_nc_u32_e32 v191, 0x500, v255
	ds_load_2addr_b64 v[156:159], v191 offset0:20 offset1:236
	s_waitcnt vmcnt(9) lgkmcnt(0)
	v_mul_f32_e32 v160, v157, v175
	v_mul_f32_e32 v161, v156, v175
	s_waitcnt vmcnt(8)
	v_mul_f32_e32 v192, v159, v163
	v_mul_f32_e32 v175, v158, v163
	s_delay_alu instid0(VALU_DEP_3) | instskip(NEXT) | instid1(VALU_DEP_2)
	v_fmac_f32_e32 v161, v157, v174
	v_fmac_f32_e32 v175, v159, v162
	v_fma_f32 v160, v156, v174, -v160
	v_fma_f32 v174, v158, v162, -v192
	v_add_nc_u32_e32 v192, 0x1200, v255
	ds_store_2addr_b64 v191, v[160:161], v[174:175] offset0:20 offset1:236
	ds_load_2addr_b64 v[156:159], v192 offset0:36 offset1:252
	s_waitcnt vmcnt(7) lgkmcnt(0)
	v_mul_f32_e32 v161, v156, v178
	v_mul_f32_e32 v160, v157, v178
	s_waitcnt vmcnt(6)
	v_mul_f32_e32 v162, v159, v180
	v_mul_f32_e32 v163, v158, v180
	v_fmac_f32_e32 v161, v157, v177
	v_fma_f32 v160, v156, v177, -v160
	s_delay_alu instid0(VALU_DEP_4) | instskip(NEXT) | instid1(VALU_DEP_4)
	v_fma_f32 v162, v158, v179, -v162
	v_fmac_f32_e32 v163, v159, v179
	ds_store_2addr_b64 v192, v[160:161], v[162:163] offset0:36 offset1:252
	ds_load_2addr_b64 v[156:159], v168 offset0:20 offset1:236
	s_waitcnt vmcnt(5) lgkmcnt(0)
	v_mul_f32_e32 v160, v157, v182
	s_waitcnt vmcnt(4)
	v_dual_mul_f32 v161, v156, v182 :: v_dual_mul_f32 v162, v159, v184
	v_dual_mul_f32 v163, v158, v184 :: v_dual_add_nc_u32 v184, 0x3b00, v255
	s_delay_alu instid0(VALU_DEP_3) | instskip(NEXT) | instid1(VALU_DEP_3)
	v_fma_f32 v160, v156, v181, -v160
	v_fmac_f32_e32 v161, v157, v181
	s_delay_alu instid0(VALU_DEP_4) | instskip(NEXT) | instid1(VALU_DEP_4)
	v_fma_f32 v162, v158, v183, -v162
	v_fmac_f32_e32 v163, v159, v183
	v_add_nc_u32_e32 v183, 0x2e00, v255
	ds_store_2addr_b64 v168, v[160:161], v[162:163] offset0:20 offset1:236
	ds_load_2addr_b64 v[156:159], v183 offset0:4 offset1:220
	ds_load_2addr_b64 v[160:163], v184 offset0:20 offset1:236
	s_waitcnt vmcnt(2) lgkmcnt(1)
	v_dual_mul_f32 v174, v157, v186 :: v_dual_mul_f32 v177, v159, v188
	v_mul_f32_e32 v178, v158, v188
	s_waitcnt vmcnt(0) lgkmcnt(0)
	v_dual_mul_f32 v182, v162, v165 :: v_dual_mul_f32 v175, v156, v186
	v_mul_f32_e32 v179, v161, v190
	v_dual_mul_f32 v180, v160, v190 :: v_dual_mul_f32 v181, v163, v165
	s_delay_alu instid0(VALU_DEP_3)
	v_fmac_f32_e32 v182, v163, v164
	v_fma_f32 v174, v156, v185, -v174
	v_fmac_f32_e32 v175, v157, v185
	v_fma_f32 v177, v158, v187, -v177
	;; [unrolled: 2-line block ×4, first 2 shown]
	ds_store_2addr_b64 v183, v[174:175], v[177:178] offset0:4 offset1:220
	ds_store_2addr_b64 v184, v[179:180], v[181:182] offset0:20 offset1:236
.LBB0_9:
	s_or_b32 exec_lo, exec_lo, s0
	s_waitcnt lgkmcnt(0)
	s_waitcnt_vscnt null, 0x0
	s_barrier
	buffer_gl0_inv
	ds_load_2addr_b64 v[200:203], v166 offset0:176 offset1:236
	ds_load_2addr_b64 v[184:187], v173 offset0:40 offset1:136
	;; [unrolled: 1-line block ×13, first 2 shown]
	ds_load_2addr_b64 v[164:167], v255 offset1:60
	ds_load_2addr_b64 v[156:159], v255 offset0:120 offset1:216
	s_and_saveexec_b32 s0, vcc_lo
	s_cbranch_execz .LBB0_11
; %bb.10:
	v_add_nc_u32_e32 v0, 0x500, v255
	v_add_nc_u32_e32 v1, 0x1200, v255
	;; [unrolled: 1-line block ×5, first 2 shown]
	ds_load_2addr_b64 v[152:155], v0 offset0:20 offset1:236
	ds_load_2addr_b64 v[148:151], v1 offset0:36 offset1:252
	;; [unrolled: 1-line block ×5, first 2 shown]
.LBB0_11:
	s_or_b32 exec_lo, exec_lo, s0
	s_waitcnt lgkmcnt(0)
	s_barrier
	buffer_gl0_inv
	scratch_load_b32 v238, off, off offset:392 ; 4-byte Folded Reload
	v_sub_f32_e32 v216, v200, v208
	v_dual_sub_f32 v217, v212, v204 :: v_dual_sub_f32 v244, v190, v194
	v_sub_f32_e32 v245, v191, v195
	v_dual_sub_f32 v250, v187, v199 :: v_dual_sub_f32 v249, v186, v198
	s_delay_alu instid0(VALU_DEP_3)
	v_add_f32_e32 v228, v216, v217
	v_sub_f32_e32 v216, v201, v209
	v_sub_f32_e32 v217, v213, v205
	;; [unrolled: 1-line block ×4, first 2 shown]
	v_add_f32_e32 v219, v209, v205
	v_sub_f32_e32 v233, v208, v204
	v_dual_add_f32 v239, v216, v217 :: v_dual_sub_f32 v216, v186, v190
	v_dual_sub_f32 v217, v198, v194 :: v_dual_sub_f32 v234, v200, v212
	s_delay_alu instid0(VALU_DEP_4) | instskip(NEXT) | instid1(VALU_DEP_2)
	v_fma_f32 v253, -0.5, v219, v165
	v_dual_add_f32 v240, v216, v217 :: v_dual_sub_f32 v217, v199, v195
	s_delay_alu instid0(VALU_DEP_2) | instskip(NEXT) | instid1(VALU_DEP_1)
	v_dual_sub_f32 v216, v187, v191 :: v_dual_fmamk_f32 v229, v234, 0x3f737871, v253
	v_dual_add_f32 v218, v159, v187 :: v_dual_add_f32 v243, v216, v217
	s_delay_alu instid0(VALU_DEP_2) | instskip(NEXT) | instid1(VALU_DEP_2)
	v_dual_add_f32 v216, v190, v194 :: v_dual_fmac_f32 v229, 0x3f167918, v233
	v_add_f32_e32 v218, v218, v191
	s_delay_alu instid0(VALU_DEP_2) | instskip(SKIP_1) | instid1(VALU_DEP_3)
	v_fma_f32 v241, -0.5, v216, v158
	v_add_f32_e32 v216, v191, v195
	v_add_f32_e32 v218, v218, v195
	v_fmac_f32_e32 v229, 0x3e9e377a, v239
	s_delay_alu instid0(VALU_DEP_4) | instskip(NEXT) | instid1(VALU_DEP_4)
	v_fmamk_f32 v217, v250, 0xbf737871, v241
	v_fma_f32 v242, -0.5, v216, v159
	s_delay_alu instid0(VALU_DEP_2) | instskip(NEXT) | instid1(VALU_DEP_2)
	v_fmac_f32_e32 v217, 0xbf167918, v245
	v_dual_fmamk_f32 v216, v249, 0x3f737871, v242 :: v_dual_fmac_f32 v241, 0x3f737871, v250
	v_fmac_f32_e32 v242, 0xbf737871, v249
	s_delay_alu instid0(VALU_DEP_3) | instskip(NEXT) | instid1(VALU_DEP_3)
	v_fmac_f32_e32 v217, 0x3e9e377a, v240
	v_dual_fmac_f32 v216, 0x3f167918, v244 :: v_dual_fmac_f32 v241, 0x3f167918, v245
	s_delay_alu instid0(VALU_DEP_3) | instskip(NEXT) | instid1(VALU_DEP_3)
	v_fmac_f32_e32 v242, 0xbf167918, v244
	v_mul_f32_e32 v251, 0x3f167918, v217
	s_delay_alu instid0(VALU_DEP_3) | instskip(NEXT) | instid1(VALU_DEP_3)
	v_dual_fmac_f32 v216, 0x3e9e377a, v243 :: v_dual_fmac_f32 v241, 0x3e9e377a, v240
	v_fmac_f32_e32 v242, 0x3e9e377a, v243
	v_dual_add_f32 v240, v176, v172 :: v_dual_sub_f32 v243, v179, v175
	s_delay_alu instid0(VALU_DEP_3) | instskip(NEXT) | instid1(VALU_DEP_1)
	v_mul_f32_e32 v246, 0xbf167918, v216
	v_dual_fmac_f32 v251, 0x3f4f1bbd, v216 :: v_dual_fmac_f32 v246, 0x3f4f1bbd, v217
	v_add_f32_e32 v217, v208, v204
	s_delay_alu instid0(VALU_DEP_2) | instskip(NEXT) | instid1(VALU_DEP_2)
	v_add_f32_e32 v219, v229, v251
	v_fma_f32 v252, -0.5, v217, v164
	v_dual_add_f32 v217, v158, v186 :: v_dual_add_f32 v216, v164, v200
	s_delay_alu instid0(VALU_DEP_1) | instskip(NEXT) | instid1(VALU_DEP_2)
	v_dual_fmamk_f32 v254, v231, 0xbf737871, v252 :: v_dual_add_f32 v217, v217, v190
	v_add_f32_e32 v216, v216, v208
	v_sub_f32_e32 v208, v208, v200
	v_add_f32_e32 v200, v200, v212
	v_sub_f32_e32 v190, v190, v186
	v_add_f32_e32 v186, v186, v198
	v_dual_add_f32 v216, v216, v204 :: v_dual_add_f32 v217, v217, v194
	v_sub_f32_e32 v204, v204, v212
	v_fma_f32 v164, -0.5, v200, v164
	s_delay_alu instid0(VALU_DEP_4) | instskip(NEXT) | instid1(VALU_DEP_4)
	v_fma_f32 v158, -0.5, v186, v158
	v_add_f32_e32 v232, v216, v212
	v_sub_f32_e32 v194, v194, v198
	v_add_f32_e32 v204, v208, v204
	v_fmamk_f32 v208, v230, 0x3f737871, v164
	v_fmac_f32_e32 v164, 0xbf737871, v230
	v_fmamk_f32 v186, v245, 0x3f737871, v158
	v_add_f32_e32 v216, v165, v201
	v_add_f32_e32 v190, v190, v194
	v_fmac_f32_e32 v158, 0xbf737871, v245
	v_fmac_f32_e32 v164, 0x3f167918, v231
	;; [unrolled: 1-line block ×4, first 2 shown]
	v_sub_f32_e32 v194, v203, v211
	v_fmac_f32_e32 v158, 0x3f167918, v250
	v_fmac_f32_e32 v164, 0x3e9e377a, v204
	;; [unrolled: 1-line block ×3, first 2 shown]
	v_sub_f32_e32 v200, v209, v201
	v_add_f32_e32 v201, v201, v213
	v_dual_add_f32 v237, v218, v199 :: v_dual_add_f32 v216, v216, v209
	v_fmac_f32_e32 v158, 0x3e9e377a, v190
	v_sub_f32_e32 v190, v191, v187
	v_sub_f32_e32 v191, v195, v199
	v_fma_f32 v165, -0.5, v201, v165
	v_add_f32_e32 v216, v216, v205
	v_dual_fmac_f32 v254, 0xbf167918, v230 :: v_dual_sub_f32 v209, v184, v188
	s_delay_alu instid0(VALU_DEP_4) | instskip(SKIP_1) | instid1(VALU_DEP_3)
	v_add_f32_e32 v190, v190, v191
	v_add_f32_e32 v187, v187, v199
	v_dual_add_f32 v235, v216, v213 :: v_dual_fmac_f32 v254, 0x3e9e377a, v228
	v_fmac_f32_e32 v208, 0xbf167918, v231
	v_fmac_f32_e32 v252, 0x3f167918, v230
	s_delay_alu instid0(VALU_DEP_4) | instskip(SKIP_3) | instid1(VALU_DEP_4)
	v_fma_f32 v159, -0.5, v187, v159
	v_mul_f32_e32 v191, 0xbf4f1bbd, v242
	v_add_f32_e32 v218, v254, v246
	v_fmac_f32_e32 v208, 0x3e9e377a, v204
	v_dual_sub_f32 v204, v205, v213 :: v_dual_fmamk_f32 v187, v244, 0xbf737871, v159
	v_fmac_f32_e32 v159, 0x3f737871, v244
	v_fmac_f32_e32 v252, 0x3e9e377a, v228
	s_delay_alu instid0(VALU_DEP_3)
	v_dual_fmac_f32 v191, 0x3f167918, v241 :: v_dual_add_f32 v200, v200, v204
	v_fmamk_f32 v204, v233, 0xbf737871, v165
	v_fmac_f32_e32 v165, 0x3f737871, v233
	v_fmac_f32_e32 v187, 0x3f167918, v249
	v_fmac_f32_e32 v159, 0xbf167918, v249
	v_fmac_f32_e32 v253, 0xbf737871, v234
	v_sub_f32_e32 v213, v185, v189
	v_fmac_f32_e32 v165, 0xbf167918, v234
	v_add_f32_e32 v236, v217, v198
	v_fmac_f32_e32 v187, 0x3e9e377a, v190
	v_fmac_f32_e32 v159, 0x3e9e377a, v190
	;; [unrolled: 1-line block ×4, first 2 shown]
	v_add_f32_e32 v216, v232, v236
	v_mul_f32_e32 v190, 0xbf737871, v187
	v_mul_f32_e32 v187, 0x3e9e377a, v187
	v_add_f32_e32 v217, v235, v237
	v_fmac_f32_e32 v253, 0x3e9e377a, v239
	s_delay_alu instid0(VALU_DEP_4) | instskip(NEXT) | instid1(VALU_DEP_4)
	v_dual_sub_f32 v195, v211, v203 :: v_dual_fmac_f32 v190, 0x3e9e377a, v186
	v_fmac_f32_e32 v187, 0x3f737871, v186
	v_mul_f32_e32 v186, 0xbf737871, v159
	v_mul_f32_e32 v159, 0xbe9e377a, v159
	s_delay_alu instid0(VALU_DEP_4) | instskip(NEXT) | instid1(VALU_DEP_3)
	v_dual_sub_f32 v205, v207, v215 :: v_dual_add_f32 v198, v208, v190
	v_dual_sub_f32 v231, v181, v177 :: v_dual_fmac_f32 v186, 0xbe9e377a, v158
	s_delay_alu instid0(VALU_DEP_3) | instskip(SKIP_3) | instid1(VALU_DEP_3)
	v_fmac_f32_e32 v159, 0x3f737871, v158
	v_fmac_f32_e32 v204, 0x3f167918, v234
	v_mul_f32_e32 v158, 0xbf167918, v242
	v_dual_add_f32 v233, v182, v170 :: v_dual_sub_f32 v212, v184, v196
	v_dual_add_f32 v201, v165, v159 :: v_dual_fmac_f32 v204, 0x3e9e377a, v200
	v_add_f32_e32 v200, v164, v186
	s_delay_alu instid0(VALU_DEP_4)
	v_fmac_f32_e32 v158, 0xbf4f1bbd, v241
	v_sub_f32_e32 v244, v168, v172
	v_sub_f32_e32 v234, v183, v171
	v_add_f32_e32 v199, v204, v187
	v_sub_f32_e32 v239, v183, v179
	v_sub_f32_e32 v241, v177, v173
	;; [unrolled: 1-line block ×4, first 2 shown]
	s_waitcnt vmcnt(0)
	ds_store_b128 v238, v[216:219]
	ds_store_b128 v238, v[198:201] offset:16
	v_dual_sub_f32 v200, v232, v236 :: v_dual_sub_f32 v201, v235, v237
	v_dual_add_f32 v198, v252, v158 :: v_dual_add_f32 v199, v253, v191
	v_sub_f32_e32 v217, v197, v193
	v_dual_add_f32 v237, v183, v171 :: v_dual_sub_f32 v218, v181, v169
	v_sub_f32_e32 v235, v182, v178
	ds_store_b128 v238, v[198:201] offset:32
	v_sub_f32_e32 v199, v229, v251
	scratch_load_b32 v251, off, off offset:332 ; 4-byte Folded Reload
	v_sub_f32_e32 v198, v254, v246
	v_sub_f32_e32 v200, v208, v190
	;; [unrolled: 1-line block ×3, first 2 shown]
	v_dual_add_f32 v190, v211, v207 :: v_dual_add_f32 v229, v181, v169
	v_dual_sub_f32 v204, v215, v207 :: v_dual_sub_f32 v187, v210, v202
	ds_store_b128 v238, v[198:201] offset:48
	v_sub_f32_e32 v199, v165, v159
	v_add_f32_e32 v159, v167, v203
	v_dual_sub_f32 v165, v211, v207 :: v_dual_sub_f32 v198, v164, v186
	v_dual_sub_f32 v201, v253, v191 :: v_dual_sub_f32 v186, v202, v210
	v_sub_f32_e32 v219, v180, v176
	s_delay_alu instid0(VALU_DEP_4)
	v_add_f32_e32 v159, v159, v211
	v_sub_f32_e32 v191, v210, v206
	v_fma_f32 v190, -0.5, v190, v167
	v_add_f32_e32 v194, v194, v204
	v_sub_f32_e32 v211, v188, v184
	v_dual_add_f32 v159, v159, v207 :: v_dual_sub_f32 v216, v188, v192
	s_delay_alu instid0(VALU_DEP_1) | instskip(SKIP_1) | instid1(VALU_DEP_1)
	v_dual_sub_f32 v208, v185, v197 :: v_dual_add_f32 v207, v159, v215
	v_add_f32_e32 v159, v157, v185
	v_dual_add_f32 v159, v159, v189 :: v_dual_sub_f32 v200, v252, v158
	s_delay_alu instid0(VALU_DEP_1)
	v_dual_add_f32 v158, v166, v202 :: v_dual_add_f32 v159, v159, v193
	ds_store_b128 v238, v[198:201] offset:64
	v_add_f32_e32 v158, v158, v210
	v_add_f32_e32 v164, v210, v206
	v_dual_sub_f32 v198, v203, v215 :: v_dual_add_f32 v199, v202, v214
	v_sub_f32_e32 v200, v202, v214
	s_delay_alu instid0(VALU_DEP_4) | instskip(SKIP_2) | instid1(VALU_DEP_3)
	v_dual_add_f32 v158, v158, v206 :: v_dual_add_f32 v201, v203, v215
	v_sub_f32_e32 v202, v214, v206
	v_dual_sub_f32 v203, v206, v214 :: v_dual_add_f32 v230, v161, v181
	v_add_f32_e32 v206, v158, v214
	v_add_f32_e32 v158, v156, v184
	v_dual_add_f32 v210, v184, v196 :: v_dual_sub_f32 v181, v177, v181
	s_delay_alu instid0(VALU_DEP_4) | instskip(NEXT) | instid1(VALU_DEP_3)
	v_add_f32_e32 v230, v230, v177
	v_dual_add_f32 v177, v177, v173 :: v_dual_add_f32 v158, v158, v188
	v_add_f32_e32 v214, v188, v192
	v_sub_f32_e32 v188, v196, v192
	s_delay_alu instid0(VALU_DEP_4) | instskip(NEXT) | instid1(VALU_DEP_4)
	v_add_f32_e32 v230, v230, v173
	v_fma_f32 v177, -0.5, v177, v161
	v_add_f32_e32 v158, v158, v192
	v_dual_add_f32 v204, v231, v245 :: v_dual_fmamk_f32 v245, v200, 0x3f737871, v190
	v_sub_f32_e32 v192, v192, v196
	v_add_f32_e32 v230, v230, v169
	v_sub_f32_e32 v173, v173, v169
	s_delay_alu instid0(VALU_DEP_4) | instskip(SKIP_1) | instid1(VALU_DEP_4)
	v_dual_add_f32 v184, v185, v197 :: v_dual_fmac_f32 v245, 0x3f167918, v191
	v_add_f32_e32 v196, v158, v196
	v_dual_add_f32 v158, v160, v180 :: v_dual_add_f32 v169, v207, v230
	v_sub_f32_e32 v185, v189, v185
	v_sub_f32_e32 v215, v189, v193
	s_delay_alu instid0(VALU_DEP_3)
	v_dual_add_f32 v189, v189, v193 :: v_dual_add_f32 v158, v158, v176
	v_sub_f32_e32 v193, v193, v197
	v_add_f32_e32 v197, v159, v197
	v_add_f32_e32 v159, v180, v168
	v_dual_sub_f32 v228, v176, v180 :: v_dual_fmac_f32 v167, -0.5, v201
	v_sub_f32_e32 v180, v180, v168
	v_add_f32_e32 v158, v158, v172
	v_add_f32_e32 v238, v163, v183
	v_dual_sub_f32 v183, v179, v183 :: v_dual_sub_f32 v176, v176, v172
	v_add_f32_e32 v186, v186, v202
	s_delay_alu instid0(VALU_DEP_4)
	v_add_f32_e32 v250, v158, v168
	v_add_f32_e32 v202, v219, v244
	v_fma_f32 v219, -0.5, v240, v160
	v_fmamk_f32 v158, v180, 0x3f737871, v177
	v_dual_sub_f32 v172, v172, v168 :: v_dual_fmac_f32 v245, 0x3e9e377a, v194
	v_fma_f32 v159, -0.5, v159, v160
	s_delay_alu instid0(VALU_DEP_4) | instskip(NEXT) | instid1(VALU_DEP_4)
	v_fmamk_f32 v168, v218, 0xbf737871, v219
	v_fmac_f32_e32 v158, 0x3f167918, v176
	v_sub_f32_e32 v236, v178, v182
	v_fma_f32 v164, -0.5, v164, v166
	v_fmamk_f32 v160, v241, 0x3f737871, v159
	v_fmac_f32_e32 v168, 0xbf167918, v241
	v_fmac_f32_e32 v158, 0x3e9e377a, v204
	s_delay_alu instid0(VALU_DEP_4) | instskip(SKIP_1) | instid1(VALU_DEP_4)
	v_dual_fmac_f32 v159, 0xbf737871, v241 :: v_dual_fmamk_f32 v244, v198, 0xbf737871, v164
	v_fma_f32 v161, -0.5, v229, v161
	v_fmac_f32_e32 v168, 0x3e9e377a, v202
	s_delay_alu instid0(VALU_DEP_4) | instskip(SKIP_2) | instid1(VALU_DEP_4)
	v_mul_f32_e32 v231, 0xbf167918, v158
	v_add_f32_e32 v242, v178, v174
	v_fma_f32 v166, -0.5, v199, v166
	v_mul_f32_e32 v240, 0x3f167918, v168
	s_delay_alu instid0(VALU_DEP_4) | instskip(SKIP_1) | instid1(VALU_DEP_3)
	v_fmac_f32_e32 v231, 0x3f4f1bbd, v168
	v_dual_fmac_f32 v159, 0x3f167918, v218 :: v_dual_add_f32 v238, v238, v179
	v_dual_add_f32 v179, v179, v175 :: v_dual_fmac_f32 v240, 0x3f4f1bbd, v158
	v_add_f32_e32 v232, v162, v182
	v_fmac_f32_e32 v244, 0xbf167918, v165
	s_delay_alu instid0(VALU_DEP_4) | instskip(SKIP_2) | instid1(VALU_DEP_4)
	v_add_f32_e32 v238, v238, v175
	v_dual_sub_f32 v175, v175, v171 :: v_dual_sub_f32 v182, v182, v170
	v_sub_f32_e32 v246, v170, v174
	v_fmac_f32_e32 v244, 0x3e9e377a, v186
	s_delay_alu instid0(VALU_DEP_4)
	v_dual_add_f32 v238, v238, v171 :: v_dual_add_f32 v171, v245, v240
	v_add_f32_e32 v232, v232, v178
	v_sub_f32_e32 v178, v178, v174
	v_add_f32_e32 v168, v206, v250
	v_add_f32_e32 v158, v187, v203
	v_fma_f32 v187, -0.5, v179, v163
	v_dual_add_f32 v232, v232, v174 :: v_dual_add_f32 v179, v183, v175
	v_sub_f32_e32 v174, v174, v170
	v_fma_f32 v175, -0.5, v233, v162
	v_fmac_f32_e32 v219, 0x3f737871, v218
	s_delay_alu instid0(VALU_DEP_4) | instskip(SKIP_4) | instid1(VALU_DEP_2)
	v_add_f32_e32 v232, v232, v170
	v_add_f32_e32 v170, v244, v231
	v_dual_fmac_f32 v160, 0xbf167918, v218 :: v_dual_fmac_f32 v163, -0.5, v237
	v_fmac_f32_e32 v164, 0x3f737871, v198
	v_fmac_f32_e32 v219, 0x3f167918, v241
	;; [unrolled: 1-line block ×3, first 2 shown]
	s_waitcnt vmcnt(0)
	ds_store_b128 v251, v[168:171]
	v_fmamk_f32 v168, v165, 0x3f737871, v166
	v_fmac_f32_e32 v166, 0xbf737871, v165
	v_fmamk_f32 v170, v191, 0xbf737871, v167
	v_fmac_f32_e32 v167, 0x3f737871, v191
	;; [unrolled: 2-line block ×3, first 2 shown]
	v_fmac_f32_e32 v166, 0x3f167918, v198
	v_fmac_f32_e32 v161, 0x3f737871, v176
	;; [unrolled: 1-line block ×6, first 2 shown]
	v_dual_add_f32 v158, v195, v205 :: v_dual_fmac_f32 v161, 0xbf167918, v180
	v_fmac_f32_e32 v177, 0xbf737871, v180
	v_add_f32_e32 v180, v209, v188
	v_fmac_f32_e32 v190, 0xbf737871, v200
	s_delay_alu instid0(VALU_DEP_4) | instskip(SKIP_2) | instid1(VALU_DEP_2)
	v_fmac_f32_e32 v167, 0x3e9e377a, v158
	v_fmac_f32_e32 v170, 0x3f167918, v200
	v_fma_f32 v195, -0.5, v242, v162
	v_fmac_f32_e32 v170, 0x3e9e377a, v158
	v_add_f32_e32 v158, v228, v172
	s_delay_alu instid0(VALU_DEP_1) | instskip(SKIP_1) | instid1(VALU_DEP_1)
	v_fmac_f32_e32 v160, 0x3e9e377a, v158
	v_dual_fmac_f32 v159, 0x3e9e377a, v158 :: v_dual_add_f32 v158, v181, v173
	v_fmac_f32_e32 v169, 0x3e9e377a, v158
	v_fmac_f32_e32 v161, 0x3e9e377a, v158
	v_fmac_f32_e32 v177, 0xbf167918, v176
	s_delay_alu instid0(VALU_DEP_3) | instskip(NEXT) | instid1(VALU_DEP_3)
	v_mul_f32_e32 v171, 0xbf737871, v169
	v_mul_f32_e32 v173, 0xbe9e377a, v161
	s_delay_alu instid0(VALU_DEP_3) | instskip(SKIP_1) | instid1(VALU_DEP_4)
	v_dual_fmac_f32 v177, 0x3e9e377a, v204 :: v_dual_mul_f32 v172, 0x3e9e377a, v169
	v_mul_f32_e32 v169, 0xbf737871, v161
	v_fmac_f32_e32 v171, 0x3e9e377a, v160
	v_fmamk_f32 v181, v178, 0xbf737871, v163
	v_fmac_f32_e32 v163, 0x3f737871, v178
	v_fmac_f32_e32 v219, 0x3e9e377a, v202
	;; [unrolled: 1-line block ×3, first 2 shown]
	v_mul_f32_e32 v165, 0xbf4f1bbd, v177
	v_fmac_f32_e32 v173, 0x3f737871, v159
	v_fmac_f32_e32 v163, 0xbf167918, v182
	;; [unrolled: 1-line block ×5, first 2 shown]
	v_add_f32_e32 v161, v167, v173
	v_dual_fmac_f32 v163, 0x3e9e377a, v179 :: v_dual_add_f32 v176, v236, v174
	v_fmac_f32_e32 v181, 0x3e9e377a, v179
	v_fmac_f32_e32 v172, 0x3f737871, v160
	s_delay_alu instid0(VALU_DEP_3)
	v_dual_add_f32 v160, v166, v169 :: v_dual_mul_f32 v199, 0xbe9e377a, v163
	v_fmac_f32_e32 v190, 0x3e9e377a, v194
	v_mul_f32_e32 v183, 0xbf737871, v163
	v_sub_f32_e32 v163, v167, v173
	v_add_f32_e32 v159, v170, v172
	v_fma_f32 v174, -0.5, v210, v156
	v_add_f32_e32 v167, v190, v165
	v_dual_sub_f32 v165, v190, v165 :: v_dual_fmamk_f32 v190, v243, 0x3f737871, v175
	v_fmac_f32_e32 v175, 0xbf737871, v243
	v_fma_f32 v156, -0.5, v214, v156
	s_delay_alu instid0(VALU_DEP_2) | instskip(NEXT) | instid1(VALU_DEP_1)
	v_dual_sub_f32 v188, v196, v232 :: v_dual_fmac_f32 v175, 0x3f167918, v234
	v_dual_fmac_f32 v175, 0x3e9e377a, v176 :: v_dual_add_f32 v158, v168, v171
	s_delay_alu instid0(VALU_DEP_1)
	v_fmac_f32_e32 v199, 0x3f737871, v175
	ds_store_b128 v251, v[158:161] offset:16
	v_mul_f32_e32 v159, 0xbf167918, v177
	v_fma_f32 v177, -0.5, v189, v157
	v_dual_fmac_f32 v157, -0.5, v184 :: v_dual_sub_f32 v160, v168, v171
	v_add_f32_e32 v171, v185, v193
	v_fmamk_f32 v185, v234, 0xbf737871, v195
	v_fmac_f32_e32 v183, 0xbe9e377a, v175
	s_delay_alu instid0(VALU_DEP_4) | instskip(SKIP_4) | instid1(VALU_DEP_4)
	v_fmamk_f32 v191, v216, 0xbf737871, v157
	v_fmac_f32_e32 v157, 0x3f737871, v216
	v_fmac_f32_e32 v195, 0x3f737871, v234
	v_sub_f32_e32 v161, v170, v172
	v_dual_add_f32 v170, v211, v192 :: v_dual_fmac_f32 v159, 0xbf4f1bbd, v219
	v_fmac_f32_e32 v157, 0xbf167918, v212
	s_delay_alu instid0(VALU_DEP_4) | instskip(SKIP_2) | instid1(VALU_DEP_4)
	v_fmac_f32_e32 v195, 0x3f167918, v243
	v_dual_fmac_f32 v191, 0x3f167918, v212 :: v_dual_sub_f32 v168, v206, v250
	v_fmac_f32_e32 v185, 0xbf167918, v243
	v_dual_fmac_f32 v157, 0x3e9e377a, v171 :: v_dual_sub_f32 v162, v166, v169
	s_delay_alu instid0(VALU_DEP_3) | instskip(SKIP_2) | instid1(VALU_DEP_4)
	v_fmac_f32_e32 v191, 0x3e9e377a, v171
	v_fmamk_f32 v192, v182, 0x3f737871, v187
	v_fmac_f32_e32 v187, 0xbf737871, v182
	v_add_f32_e32 v173, v157, v199
	v_sub_f32_e32 v175, v157, v199
	v_fmamk_f32 v157, v215, 0x3f737871, v174
	v_fmac_f32_e32 v174, 0xbf737871, v215
	v_dual_sub_f32 v158, v244, v231 :: v_dual_fmac_f32 v187, 0xbf167918, v178
	v_fmac_f32_e32 v192, 0x3f167918, v178
	s_delay_alu instid0(VALU_DEP_4) | instskip(NEXT) | instid1(VALU_DEP_4)
	v_fmac_f32_e32 v157, 0xbf167918, v208
	v_dual_fmac_f32 v174, 0x3f167918, v208 :: v_dual_sub_f32 v169, v207, v230
	s_delay_alu instid0(VALU_DEP_2) | instskip(NEXT) | instid1(VALU_DEP_2)
	v_dual_add_f32 v182, v196, v232 :: v_dual_fmac_f32 v157, 0x3e9e377a, v170
	v_fmac_f32_e32 v174, 0x3e9e377a, v170
	s_delay_alu instid0(VALU_DEP_1) | instskip(SKIP_2) | instid1(VALU_DEP_2)
	v_add_f32_e32 v172, v174, v183
	v_dual_sub_f32 v174, v174, v183 :: v_dual_fmamk_f32 v183, v208, 0xbf737871, v156
	v_fmac_f32_e32 v156, 0x3f737871, v208
	v_fmac_f32_e32 v183, 0xbf167918, v215
	s_delay_alu instid0(VALU_DEP_2) | instskip(NEXT) | instid1(VALU_DEP_2)
	v_fmac_f32_e32 v156, 0x3f167918, v215
	v_fmac_f32_e32 v183, 0x3e9e377a, v180
	s_delay_alu instid0(VALU_DEP_2) | instskip(SKIP_1) | instid1(VALU_DEP_1)
	v_fmac_f32_e32 v156, 0x3e9e377a, v180
	v_add_f32_e32 v180, v239, v249
	v_dual_fmac_f32 v164, 0x3e9e377a, v186 :: v_dual_fmac_f32 v187, 0x3e9e377a, v180
	s_delay_alu instid0(VALU_DEP_1) | instskip(NEXT) | instid1(VALU_DEP_1)
	v_dual_add_f32 v170, v235, v246 :: v_dual_mul_f32 v189, 0xbf167918, v187
	v_dual_add_f32 v166, v164, v159 :: v_dual_fmac_f32 v185, 0x3e9e377a, v170
	v_dual_sub_f32 v164, v164, v159 :: v_dual_fmac_f32 v195, 0x3e9e377a, v170
	v_sub_f32_e32 v159, v245, v240
	ds_store_b128 v251, v[166:169] offset:32
	ds_store_b128 v251, v[158:161] offset:48
	ds_store_b128 v251, v[162:165] offset:64
	v_fmac_f32_e32 v189, 0xbf4f1bbd, v195
	v_fmac_f32_e32 v192, 0x3e9e377a, v180
	s_delay_alu instid0(VALU_DEP_1) | instskip(NEXT) | instid1(VALU_DEP_1)
	v_dual_add_f32 v186, v156, v189 :: v_dual_mul_f32 v179, 0xbf167918, v192
	v_fmac_f32_e32 v179, 0x3f4f1bbd, v185
	s_delay_alu instid0(VALU_DEP_1) | instskip(SKIP_4) | instid1(VALU_DEP_3)
	v_sub_f32_e32 v178, v183, v179
	v_dual_add_f32 v184, v183, v179 :: v_dual_add_f32 v183, v197, v238
	v_fmac_f32_e32 v190, 0xbf167918, v234
	v_fmamk_f32 v179, v212, 0x3f737871, v177
	v_fmac_f32_e32 v177, 0xbf737871, v212
	v_fmac_f32_e32 v190, 0x3e9e377a, v176
	v_mul_f32_e32 v176, 0xbf737871, v181
	s_delay_alu instid0(VALU_DEP_3) | instskip(SKIP_1) | instid1(VALU_DEP_3)
	v_fmac_f32_e32 v177, 0xbf167918, v216
	v_fmac_f32_e32 v179, 0x3f167918, v216
	;; [unrolled: 1-line block ×3, first 2 shown]
	s_delay_alu instid0(VALU_DEP_1)
	v_add_f32_e32 v170, v157, v176
	v_sub_f32_e32 v180, v157, v176
	v_sub_f32_e32 v176, v156, v189
	v_add_f32_e32 v156, v213, v217
	v_mul_f32_e32 v157, 0x3f167918, v185
	v_sub_f32_e32 v189, v197, v238
	s_delay_alu instid0(VALU_DEP_3) | instskip(SKIP_3) | instid1(VALU_DEP_1)
	v_fmac_f32_e32 v179, 0x3e9e377a, v156
	v_fmac_f32_e32 v177, 0x3e9e377a, v156
	v_mul_f32_e32 v156, 0xbf4f1bbd, v187
	v_fmac_f32_e32 v157, 0x3f4f1bbd, v192
	v_dual_fmac_f32 v156, 0x3f167918, v195 :: v_dual_add_f32 v185, v179, v157
	v_sub_f32_e32 v179, v179, v157
	v_mul_f32_e32 v157, 0x3e9e377a, v181
	s_delay_alu instid0(VALU_DEP_3) | instskip(SKIP_3) | instid1(VALU_DEP_1)
	v_add_f32_e32 v187, v177, v156
	v_sub_f32_e32 v177, v177, v156
	scratch_load_b32 v156, off, off offset:336 ; 4-byte Folded Reload
	v_fmac_f32_e32 v157, 0x3f737871, v190
	v_add_f32_e32 v171, v191, v157
	v_sub_f32_e32 v181, v191, v157
	s_waitcnt vmcnt(0)
	ds_store_b128 v156, v[182:185]
	ds_store_b128 v156, v[170:173] offset:16
	ds_store_b128 v156, v[186:189] offset:32
	;; [unrolled: 1-line block ×4, first 2 shown]
	s_and_saveexec_b32 s0, vcc_lo
	s_cbranch_execz .LBB0_13
; %bb.12:
	v_dual_add_f32 v156, v145, v5 :: v_dual_add_f32 v159, v146, v6
	v_dual_sub_f32 v165, v151, v3 :: v_dual_add_f32 v166, v150, v2
	v_dual_sub_f32 v157, v149, v145 :: v_dual_add_f32 v158, v147, v7
	v_dual_add_f32 v164, v151, v3 :: v_dual_add_f32 v167, v144, v4
	s_delay_alu instid0(VALU_DEP_4) | instskip(NEXT) | instid1(VALU_DEP_4)
	v_fma_f32 v159, -0.5, v159, v154
	v_fma_f32 v166, -0.5, v166, v154
	v_dual_add_f32 v154, v154, v150 :: v_dual_sub_f32 v169, v151, v147
	s_delay_alu instid0(VALU_DEP_3)
	v_dual_sub_f32 v172, v3, v7 :: v_dual_fmamk_f32 v173, v165, 0x3f737871, v159
	v_dual_sub_f32 v160, v148, v0 :: v_dual_sub_f32 v161, v150, v146
	v_fma_f32 v158, -0.5, v158, v155
	v_dual_sub_f32 v162, v150, v2 :: v_dual_add_f32 v163, v149, v1
	v_fma_f32 v164, -0.5, v164, v155
	v_dual_add_f32 v168, v148, v0 :: v_dual_add_f32 v155, v155, v151
	v_dual_add_f32 v169, v169, v172 :: v_dual_sub_f32 v172, v2, v6
	v_fma_f32 v156, -0.5, v156, v153
	v_fma_f32 v163, -0.5, v163, v153
	v_add_f32_e32 v153, v153, v149
	v_fma_f32 v167, -0.5, v167, v152
	v_fma_f32 v168, -0.5, v168, v152
	v_add_f32_e32 v152, v152, v148
	v_dual_sub_f32 v170, v145, v149 :: v_dual_sub_f32 v151, v147, v151
	v_dual_sub_f32 v150, v146, v150 :: v_dual_sub_f32 v149, v149, v1
	v_dual_sub_f32 v171, v148, v144 :: v_dual_add_f32 v154, v154, v146
	s_delay_alu instid0(VALU_DEP_4)
	v_dual_add_f32 v155, v155, v147 :: v_dual_add_f32 v152, v152, v144
	v_dual_sub_f32 v146, v146, v6 :: v_dual_sub_f32 v147, v147, v7
	v_add_f32_e32 v161, v161, v172
	v_sub_f32_e32 v172, v1, v5
	v_dual_sub_f32 v148, v144, v148 :: v_dual_add_f32 v153, v153, v145
	v_dual_sub_f32 v144, v144, v4 :: v_dual_sub_f32 v145, v145, v5
	s_delay_alu instid0(VALU_DEP_3) | instskip(SKIP_3) | instid1(VALU_DEP_3)
	v_add_f32_e32 v157, v157, v172
	v_sub_f32_e32 v172, v5, v1
	v_fmac_f32_e32 v159, 0xbf737871, v165
	v_fmac_f32_e32 v173, 0x3f167918, v147
	v_dual_add_f32 v5, v153, v5 :: v_dual_add_f32 v170, v170, v172
	v_sub_f32_e32 v172, v7, v3
	s_delay_alu instid0(VALU_DEP_4) | instskip(NEXT) | instid1(VALU_DEP_4)
	v_fmac_f32_e32 v159, 0xbf167918, v147
	v_fmac_f32_e32 v173, 0x3e9e377a, v161
	v_add_f32_e32 v7, v155, v7
	v_add_f32_e32 v1, v5, v1
	v_dual_add_f32 v151, v151, v172 :: v_dual_sub_f32 v172, v6, v2
	v_fmac_f32_e32 v159, 0x3e9e377a, v161
	s_delay_alu instid0(VALU_DEP_2) | instskip(SKIP_4) | instid1(VALU_DEP_4)
	v_dual_add_f32 v3, v7, v3 :: v_dual_add_f32 v150, v150, v172
	v_fmamk_f32 v172, v147, 0xbf737871, v166
	v_fmac_f32_e32 v166, 0x3f737871, v147
	v_fmamk_f32 v147, v162, 0xbf737871, v158
	v_fmac_f32_e32 v158, 0x3f737871, v162
	v_fmac_f32_e32 v172, 0x3f167918, v165
	s_delay_alu instid0(VALU_DEP_4) | instskip(SKIP_3) | instid1(VALU_DEP_3)
	v_fmac_f32_e32 v166, 0xbf167918, v165
	v_fmamk_f32 v165, v146, 0x3f737871, v164
	v_fmac_f32_e32 v164, 0xbf737871, v146
	v_fmac_f32_e32 v158, 0x3f167918, v146
	;; [unrolled: 1-line block ×3, first 2 shown]
	s_delay_alu instid0(VALU_DEP_3) | instskip(SKIP_2) | instid1(VALU_DEP_4)
	v_fmac_f32_e32 v164, 0x3f167918, v162
	v_fmamk_f32 v162, v144, 0x3f737871, v163
	v_fmac_f32_e32 v163, 0xbf737871, v144
	v_dual_fmac_f32 v165, 0x3e9e377a, v151 :: v_dual_fmac_f32 v166, 0x3e9e377a, v150
	s_delay_alu instid0(VALU_DEP_2) | instskip(SKIP_2) | instid1(VALU_DEP_4)
	v_fmac_f32_e32 v163, 0x3f167918, v160
	v_dual_fmac_f32 v164, 0x3e9e377a, v151 :: v_dual_add_f32 v151, v154, v6
	v_fmac_f32_e32 v162, 0xbf167918, v160
	v_mul_f32_e32 v161, 0xbe9e377a, v165
	s_delay_alu instid0(VALU_DEP_4) | instskip(SKIP_1) | instid1(VALU_DEP_4)
	v_fmac_f32_e32 v163, 0x3e9e377a, v170
	v_mul_f32_e32 v7, 0xbf737871, v165
	v_fmac_f32_e32 v162, 0x3e9e377a, v170
	v_fmamk_f32 v170, v160, 0xbf737871, v156
	v_fmac_f32_e32 v156, 0x3f737871, v160
	s_delay_alu instid0(VALU_DEP_2) | instskip(NEXT) | instid1(VALU_DEP_2)
	v_fmac_f32_e32 v170, 0xbf167918, v144
	v_fmac_f32_e32 v156, 0x3f167918, v144
	v_dual_sub_f32 v144, v0, v4 :: v_dual_fmac_f32 v147, 0xbf167918, v146
	v_fmac_f32_e32 v172, 0x3e9e377a, v150
	v_add_f32_e32 v150, v152, v4
	v_mul_f32_e32 v152, 0x3e9e377a, v164
	s_delay_alu instid0(VALU_DEP_4) | instskip(NEXT) | instid1(VALU_DEP_4)
	v_dual_sub_f32 v146, v4, v0 :: v_dual_fmac_f32 v147, 0x3e9e377a, v169
	v_fmac_f32_e32 v161, 0x3f737871, v172
	v_add_f32_e32 v144, v171, v144
	v_fmac_f32_e32 v158, 0x3e9e377a, v169
	v_fmamk_f32 v169, v149, 0x3f737871, v167
	v_mul_f32_e32 v171, 0xbf167918, v147
	v_mul_f32_e32 v160, 0xbf4f1bbd, v147
	v_fmac_f32_e32 v152, 0x3f737871, v166
	v_fmac_f32_e32 v170, 0x3e9e377a, v157
	;; [unrolled: 1-line block ×5, first 2 shown]
	v_fmamk_f32 v173, v145, 0xbf737871, v168
	v_dual_fmac_f32 v168, 0x3f737871, v145 :: v_dual_add_f32 v153, v163, v152
	v_mul_f32_e32 v164, 0xbf737871, v164
	v_dual_sub_f32 v147, v163, v152 :: v_dual_mul_f32 v154, 0x3f167918, v159
	v_dual_fmac_f32 v167, 0xbf737871, v149 :: v_dual_add_f32 v146, v148, v146
	v_fmac_f32_e32 v7, 0xbe9e377a, v172
	v_fmac_f32_e32 v173, 0x3f167918, v149
	v_dual_fmac_f32 v156, 0x3e9e377a, v157 :: v_dual_fmac_f32 v169, 0x3e9e377a, v144
	v_dual_fmac_f32 v168, 0xbf167918, v149 :: v_dual_mul_f32 v165, 0xbf167918, v158
	s_delay_alu instid0(VALU_DEP_3) | instskip(SKIP_2) | instid1(VALU_DEP_4)
	v_dual_add_f32 v0, v150, v0 :: v_dual_fmac_f32 v173, 0x3e9e377a, v146
	v_dual_add_f32 v2, v151, v2 :: v_dual_add_f32 v155, v162, v161
	v_dual_add_f32 v149, v170, v160 :: v_dual_fmac_f32 v154, 0x3f4f1bbd, v158
	v_dual_fmac_f32 v165, 0x3f4f1bbd, v159 :: v_dual_sub_f32 v6, v170, v160
	v_fmac_f32_e32 v167, 0xbf167918, v145
	v_sub_f32_e32 v151, v1, v3
	s_delay_alu instid0(VALU_DEP_4)
	v_sub_f32_e32 v145, v156, v154
	v_sub_f32_e32 v150, v0, v2
	v_dual_add_f32 v159, v156, v154 :: v_dual_add_f32 v154, v173, v7
	v_add_f32_e32 v156, v0, v2
	scratch_load_b32 v0, off, off offset:448 ; 4-byte Folded Reload
	v_dual_fmac_f32 v164, 0x3e9e377a, v166 :: v_dual_fmac_f32 v167, 0x3e9e377a, v144
	v_dual_fmac_f32 v168, 0x3e9e377a, v146 :: v_dual_add_f32 v157, v1, v3
	v_add_f32_e32 v148, v169, v171
	v_dual_sub_f32 v4, v162, v161 :: v_dual_sub_f32 v5, v169, v171
	s_delay_alu instid0(VALU_DEP_4) | instskip(NEXT) | instid1(VALU_DEP_4)
	v_add_f32_e32 v158, v167, v165
	v_add_f32_e32 v152, v168, v164
	v_dual_sub_f32 v146, v168, v164 :: v_dual_sub_f32 v3, v173, v7
	v_sub_f32_e32 v144, v167, v165
	s_waitcnt vmcnt(0)
	v_lshlrev_b32_e32 v0, 3, v0
	ds_store_b128 v0, v[156:159]
	ds_store_b128 v0, v[152:155] offset:16
	ds_store_b128 v0, v[148:151] offset:32
	;; [unrolled: 1-line block ×4, first 2 shown]
.LBB0_13:
	s_or_b32 exec_lo, exec_lo, s0
	v_add_nc_u32_e32 v144, 0x800, v255
	s_waitcnt lgkmcnt(0)
	s_barrier
	buffer_gl0_inv
	s_mul_i32 s10, s5, 0xd80
	ds_load_2addr_b64 v[0:3], v144 offset0:104 offset1:164
	s_mov_b32 s2, 0xc901e574
	s_mov_b32 s3, 0x3f3e573a
	s_mul_hi_u32 s1, s4, 0xd8
	v_add_nc_u32_e32 v145, 0x1400, v255
	ds_load_2addr_b64 v[4:7], v145 offset0:80 offset1:140
	s_waitcnt lgkmcnt(1)
	v_mul_f32_e32 v159, v13, v1
	v_mul_f32_e32 v157, v9, v3
	s_delay_alu instid0(VALU_DEP_2) | instskip(NEXT) | instid1(VALU_DEP_2)
	v_fmac_f32_e32 v159, v12, v0
	v_dual_mul_f32 v0, v13, v0 :: v_dual_fmac_f32 v157, v8, v2
	v_add_nc_u32_e32 v13, 0x3800, v255
	s_waitcnt lgkmcnt(0)
	v_mul_f32_e32 v161, v11, v7
	v_mul_f32_e32 v167, v15, v5
	v_fma_f32 v160, v12, v1, -v0
	v_mul_f32_e32 v0, v15, v4
	s_delay_alu instid0(VALU_DEP_4) | instskip(SKIP_1) | instid1(VALU_DEP_3)
	v_dual_fmac_f32 v161, v10, v6 :: v_dual_add_nc_u32 v12, 0x3000, v255
	v_add_nc_u32_e32 v15, 0x1000, v255
	v_fma_f32 v168, v14, v5, -v0
	v_mul_f32_e32 v0, v9, v2
	s_delay_alu instid0(VALU_DEP_1) | instskip(SKIP_1) | instid1(VALU_DEP_1)
	v_fma_f32 v158, v8, v3, -v0
	v_dual_mul_f32 v0, v11, v6 :: v_dual_add_nc_u32 v11, 0x2800, v255
	v_fma_f32 v162, v10, v7, -v0
	v_add_nc_u32_e32 v10, 0x2000, v255
	ds_load_2addr_b64 v[0:3], v10 offset0:56 offset1:116
	v_fmac_f32_e32 v167, v14, v4
	ds_load_2addr_b64 v[4:7], v11 offset0:160 offset1:220
	s_waitcnt lgkmcnt(1)
	v_dual_mul_f32 v169, v21, v1 :: v_dual_add_nc_u32 v14, 0x3c00, v255
	v_mul_f32_e32 v163, v17, v3
	s_waitcnt lgkmcnt(0)
	v_mul_f32_e32 v165, v19, v7
	v_mul_f32_e32 v171, v23, v5
	v_fmac_f32_e32 v169, v20, v0
	s_delay_alu instid0(VALU_DEP_3) | instskip(SKIP_1) | instid1(VALU_DEP_2)
	v_dual_mul_f32 v0, v21, v0 :: v_dual_fmac_f32 v165, v18, v6
	v_fmac_f32_e32 v163, v16, v2
	v_fma_f32 v170, v20, v1, -v0
	v_mul_f32_e32 v0, v23, v4
	s_delay_alu instid0(VALU_DEP_1) | instskip(SKIP_1) | instid1(VALU_DEP_1)
	v_fma_f32 v172, v22, v5, -v0
	v_mul_f32_e32 v0, v17, v2
	v_fma_f32 v164, v16, v3, -v0
	v_mul_f32_e32 v0, v19, v6
	v_add_nc_u32_e32 v16, 0x1800, v255
	s_delay_alu instid0(VALU_DEP_2)
	v_fma_f32 v166, v18, v7, -v0
	v_dual_fmac_f32 v171, v22, v4 :: v_dual_add_nc_u32 v18, 0xc00, v255
	ds_load_2addr_b64 v[4:7], v16 offset0:72 offset1:132
	ds_load_2addr_b64 v[0:3], v18 offset0:96 offset1:156
	s_waitcnt lgkmcnt(1)
	v_mul_f32_e32 v151, v39, v5
	s_waitcnt lgkmcnt(0)
	v_mul_f32_e32 v146, v37, v1
	s_delay_alu instid0(VALU_DEP_1) | instskip(SKIP_1) | instid1(VALU_DEP_1)
	v_fmac_f32_e32 v146, v36, v0
	v_mul_f32_e32 v0, v37, v0
	v_fma_f32 v147, v36, v1, -v0
	v_mul_f32_e32 v0, v39, v4
	v_mul_f32_e32 v36, v25, v3
	s_delay_alu instid0(VALU_DEP_2) | instskip(SKIP_1) | instid1(VALU_DEP_3)
	v_fma_f32 v152, v38, v5, -v0
	v_mul_f32_e32 v0, v25, v2
	v_dual_fmac_f32 v36, v24, v2 :: v_dual_fmac_f32 v151, v38, v4
	v_mul_f32_e32 v38, v27, v7
	s_delay_alu instid0(VALU_DEP_3) | instskip(SKIP_1) | instid1(VALU_DEP_1)
	v_fma_f32 v37, v24, v3, -v0
	v_mul_f32_e32 v0, v27, v6
	v_fma_f32 v39, v26, v7, -v0
	ds_load_2addr_b64 v[0:3], v10 offset0:176 offset1:236
	v_fmac_f32_e32 v38, v26, v6
	ds_load_2addr_b64 v[4:7], v12 offset0:24 offset1:84
	s_waitcnt lgkmcnt(1)
	v_mul_f32_e32 v155, v33, v1
	s_waitcnt lgkmcnt(0)
	v_mul_f32_e32 v149, v31, v7
	s_delay_alu instid0(VALU_DEP_2) | instskip(NEXT) | instid1(VALU_DEP_2)
	v_dual_mul_f32 v154, v35, v5 :: v_dual_fmac_f32 v155, v32, v0
	v_dual_mul_f32 v0, v33, v0 :: v_dual_fmac_f32 v149, v30, v6
	s_delay_alu instid0(VALU_DEP_2) | instskip(NEXT) | instid1(VALU_DEP_2)
	v_fmac_f32_e32 v154, v34, v4
	v_fma_f32 v153, v32, v1, -v0
	v_dual_mul_f32 v0, v35, v4 :: v_dual_mul_f32 v35, v29, v3
	s_delay_alu instid0(VALU_DEP_1) | instskip(SKIP_1) | instid1(VALU_DEP_3)
	v_fma_f32 v156, v34, v5, -v0
	v_mul_f32_e32 v0, v29, v2
	v_fmac_f32_e32 v35, v28, v2
	s_delay_alu instid0(VALU_DEP_2) | instskip(SKIP_1) | instid1(VALU_DEP_1)
	v_fma_f32 v148, v28, v3, -v0
	v_mul_f32_e32 v0, v31, v6
	v_fma_f32 v150, v30, v7, -v0
	ds_load_2addr_b64 v[0:3], v15 offset0:88 offset1:148
	ds_load_2addr_b64 v[4:7], v16 offset0:192 offset1:252
	s_waitcnt lgkmcnt(1)
	v_mul_f32_e32 v21, v41, v1
	s_waitcnt lgkmcnt(0)
	v_mul_f32_e32 v29, v43, v5
	v_mul_f32_e32 v19, v49, v3
	s_delay_alu instid0(VALU_DEP_3) | instskip(NEXT) | instid1(VALU_DEP_2)
	v_dual_mul_f32 v22, v51, v7 :: v_dual_fmac_f32 v21, v40, v0
	v_dual_mul_f32 v0, v41, v0 :: v_dual_fmac_f32 v19, v48, v2
	s_delay_alu instid0(VALU_DEP_4) | instskip(NEXT) | instid1(VALU_DEP_2)
	v_fmac_f32_e32 v29, v42, v4
	v_fma_f32 v24, v40, v1, -v0
	v_mul_f32_e32 v0, v43, v4
	s_delay_alu instid0(VALU_DEP_1) | instskip(SKIP_1) | instid1(VALU_DEP_1)
	v_fma_f32 v30, v42, v5, -v0
	v_mul_f32_e32 v0, v49, v2
	v_fma_f32 v20, v48, v3, -v0
	v_mul_f32_e32 v0, v51, v6
	s_delay_alu instid0(VALU_DEP_1)
	v_fma_f32 v23, v50, v7, -v0
	ds_load_2addr_b64 v[0:3], v11 offset0:40 offset1:100
	v_fmac_f32_e32 v22, v50, v6
	ds_load_2addr_b64 v[4:7], v12 offset0:144 offset1:204
	s_waitcnt lgkmcnt(1)
	v_mul_f32_e32 v25, v53, v3
	v_mul_f32_e32 v40, v57, v1
	s_waitcnt lgkmcnt(0)
	v_mul_f32_e32 v34, v59, v5
	v_mul_f32_e32 v27, v55, v7
	v_fmac_f32_e32 v25, v52, v2
	v_fmac_f32_e32 v40, v56, v0
	s_delay_alu instid0(VALU_DEP_3) | instskip(SKIP_1) | instid1(VALU_DEP_2)
	v_dual_mul_f32 v0, v57, v0 :: v_dual_fmac_f32 v27, v54, v6
	v_fmac_f32_e32 v34, v58, v4
	v_fma_f32 v33, v56, v1, -v0
	v_mul_f32_e32 v0, v59, v4
	v_sub_f32_e32 v59, v168, v172
	s_delay_alu instid0(VALU_DEP_2) | instskip(SKIP_1) | instid1(VALU_DEP_1)
	v_fma_f32 v41, v58, v5, -v0
	v_mul_f32_e32 v0, v53, v2
	v_fma_f32 v26, v52, v3, -v0
	v_mul_f32_e32 v0, v55, v6
	scratch_load_b64 v[5:6], off, off offset:308 ; 8-byte Folded Reload
	v_fma_f32 v28, v54, v7, -v0
	ds_load_2addr_b64 v[0:3], v13 offset0:8 offset1:68
	s_waitcnt vmcnt(0) lgkmcnt(0)
	v_mul_f32_e32 v4, v6, v1
	s_delay_alu instid0(VALU_DEP_1)
	v_fmac_f32_e32 v4, v5, v0
	v_mul_f32_e32 v0, v6, v0
	scratch_load_b64 v[6:7], off, off offset:300 ; 8-byte Folded Reload
	v_fma_f32 v5, v5, v1, -v0
	s_waitcnt vmcnt(0)
	v_mul_f32_e32 v56, v7, v3
	v_mul_f32_e32 v0, v7, v2
	s_delay_alu instid0(VALU_DEP_2) | instskip(NEXT) | instid1(VALU_DEP_2)
	v_fmac_f32_e32 v56, v6, v2
	v_fma_f32 v57, v6, v3, -v0
	scratch_load_b64 v[6:7], off, off offset:324 ; 8-byte Folded Reload
	ds_load_2addr_b64 v[0:3], v13 offset0:128 offset1:188
	s_waitcnt vmcnt(0) lgkmcnt(0)
	v_mul_f32_e32 v51, v7, v1
	s_delay_alu instid0(VALU_DEP_1) | instskip(SKIP_1) | instid1(VALU_DEP_1)
	v_fmac_f32_e32 v51, v6, v0
	v_mul_f32_e32 v0, v7, v0
	v_fma_f32 v50, v6, v1, -v0
	scratch_load_b64 v[6:7], off, off offset:316 ; 8-byte Folded Reload
	s_waitcnt vmcnt(0)
	v_mul_f32_e32 v48, v7, v3
	v_mul_f32_e32 v0, v7, v2
	s_delay_alu instid0(VALU_DEP_2) | instskip(NEXT) | instid1(VALU_DEP_2)
	v_fmac_f32_e32 v48, v6, v2
	v_fma_f32 v49, v6, v3, -v0
	scratch_load_b64 v[6:7], off, off offset:372 ; 8-byte Folded Reload
	ds_load_2addr_b64 v[0:3], v14 offset0:120 offset1:180
	s_waitcnt vmcnt(0) lgkmcnt(0)
	v_mul_f32_e32 v43, v7, v1
	s_delay_alu instid0(VALU_DEP_1) | instskip(SKIP_1) | instid1(VALU_DEP_1)
	v_fmac_f32_e32 v43, v6, v0
	v_mul_f32_e32 v0, v7, v0
	v_fma_f32 v42, v6, v1, -v0
	scratch_load_b64 v[6:7], off, off offset:364 ; 8-byte Folded Reload
	s_waitcnt vmcnt(0)
	v_mul_f32_e32 v31, v7, v3
	v_mul_f32_e32 v0, v7, v2
	s_delay_alu instid0(VALU_DEP_2) | instskip(NEXT) | instid1(VALU_DEP_2)
	v_fmac_f32_e32 v31, v6, v2
	v_fma_f32 v32, v6, v3, -v0
	ds_load_2addr_b64 v[6:9], v255 offset1:60
	s_waitcnt lgkmcnt(0)
	v_dual_add_f32 v3, v160, v170 :: v_dual_add_f32 v0, v7, v168
	v_add_f32_e32 v1, v6, v167
	v_add_f32_e32 v17, v169, v4
	s_delay_alu instid0(VALU_DEP_3)
	v_add_f32_e32 v58, v0, v172
	v_add_f32_e32 v0, v168, v172
	;; [unrolled: 1-line block ×5, first 2 shown]
	v_sub_f32_e32 v167, v167, v171
	s_delay_alu instid0(VALU_DEP_2) | instskip(SKIP_1) | instid1(VALU_DEP_2)
	v_fma_f32 v175, -0.5, v1, v6
	v_add_f32_e32 v2, v170, v5
	v_dual_sub_f32 v170, v170, v5 :: v_dual_fmamk_f32 v177, v59, 0xbf5db3d7, v175
	s_delay_alu instid0(VALU_DEP_2) | instskip(SKIP_4) | instid1(VALU_DEP_4)
	v_dual_fmac_f32 v175, 0x3f5db3d7, v59 :: v_dual_fmac_f32 v160, -0.5, v2
	v_dual_add_f32 v2, v159, v169 :: v_dual_sub_f32 v169, v169, v4
	v_fmac_f32_e32 v159, -0.5, v17
	v_add_nc_u32_e32 v17, 0x400, v255
	v_fma_f32 v176, -0.5, v0, v7
	v_add_f32_e32 v171, v2, v4
	s_delay_alu instid0(VALU_DEP_2) | instskip(SKIP_3) | instid1(VALU_DEP_3)
	v_dual_add_f32 v53, v58, v172 :: v_dual_fmamk_f32 v178, v167, 0x3f5db3d7, v176
	v_fmamk_f32 v2, v169, 0x3f5db3d7, v160
	v_fmac_f32_e32 v160, 0xbf5db3d7, v169
	v_fmac_f32_e32 v176, 0xbf5db3d7, v167
	v_dual_add_f32 v52, v168, v171 :: v_dual_mul_f32 v173, 0xbf5db3d7, v2
	s_delay_alu instid0(VALU_DEP_3) | instskip(SKIP_2) | instid1(VALU_DEP_2)
	v_dual_mul_f32 v174, 0.5, v2 :: v_dual_mul_f32 v59, -0.5, v160
	v_fmamk_f32 v2, v170, 0xbf5db3d7, v159
	v_fmac_f32_e32 v159, 0x3f5db3d7, v170
	v_fmac_f32_e32 v173, 0.5, v2
	s_delay_alu instid0(VALU_DEP_4)
	v_fmac_f32_e32 v174, 0x3f5db3d7, v2
	ds_load_2addr_b64 v[4:7], v255 offset0:120 offset1:180
	ds_load_2addr_b64 v[0:3], v17 offset0:112 offset1:172
	s_waitcnt lgkmcnt(0)
	s_barrier
	buffer_gl0_inv
	s_clause 0x1
	scratch_load_b32 v179, off, off offset:360
	scratch_load_b32 v167, off, off offset:340
	v_dual_add_f32 v54, v177, v173 :: v_dual_add_f32 v55, v178, v174
	v_fmac_f32_e32 v59, 0x3f5db3d7, v159
	s_waitcnt vmcnt(1)
	ds_store_2addr_b64 v179, v[52:53], v[54:55] offset1:10
	v_add_f32_e32 v55, v176, v59
	v_sub_f32_e32 v53, v58, v172
	v_mul_f32_e32 v58, 0xbf5db3d7, v160
	v_sub_f32_e32 v52, v168, v171
	s_delay_alu instid0(VALU_DEP_2) | instskip(NEXT) | instid1(VALU_DEP_1)
	v_fmac_f32_e32 v58, -0.5, v159
	v_add_f32_e32 v54, v175, v58
	ds_store_2addr_b64 v179, v[54:55], v[52:53] offset0:20 offset1:30
	v_dual_sub_f32 v52, v177, v173 :: v_dual_sub_f32 v53, v178, v174
	v_dual_sub_f32 v54, v175, v58 :: v_dual_sub_f32 v55, v176, v59
	ds_store_2addr_b64 v179, v[52:53], v[54:55] offset0:40 offset1:50
	v_add_f32_e32 v53, v162, v166
	v_dual_add_f32 v52, v9, v162 :: v_dual_add_f32 v55, v163, v56
	s_delay_alu instid0(VALU_DEP_2) | instskip(SKIP_1) | instid1(VALU_DEP_3)
	v_fmac_f32_e32 v9, -0.5, v53
	v_add_f32_e32 v53, v164, v57
	v_add_f32_e32 v59, v52, v166
	v_sub_f32_e32 v58, v162, v166
	v_add_f32_e32 v52, v8, v161
	v_add_f32_e32 v54, v158, v164
	v_dual_fmac_f32 v158, -0.5, v53 :: v_dual_add_f32 v53, v157, v163
	v_dual_fmac_f32 v157, -0.5, v55 :: v_dual_sub_f32 v162, v164, v57
	v_sub_f32_e32 v160, v161, v165
	v_add_f32_e32 v159, v52, v165
	s_delay_alu instid0(VALU_DEP_2) | instskip(SKIP_2) | instid1(VALU_DEP_2)
	v_dual_add_f32 v57, v54, v57 :: v_dual_fmamk_f32 v166, v160, 0x3f5db3d7, v9
	v_dual_add_f32 v52, v161, v165 :: v_dual_sub_f32 v161, v163, v56
	v_add_f32_e32 v56, v53, v56
	v_fmamk_f32 v53, v161, 0x3f5db3d7, v158
	s_delay_alu instid0(VALU_DEP_1) | instskip(SKIP_3) | instid1(VALU_DEP_3)
	v_mul_f32_e32 v163, 0xbf5db3d7, v53
	v_dual_mul_f32 v164, 0.5, v53 :: v_dual_fmamk_f32 v53, v162, 0xbf5db3d7, v157
	v_fmac_f32_e32 v157, 0x3f5db3d7, v162
	v_dual_fmac_f32 v9, 0xbf5db3d7, v160 :: v_dual_fmac_f32 v158, 0xbf5db3d7, v161
	v_fmac_f32_e32 v164, 0x3f5db3d7, v53
	v_fmac_f32_e32 v163, 0.5, v53
	v_add_f32_e32 v53, v59, v57
	s_delay_alu instid0(VALU_DEP_3) | instskip(SKIP_1) | instid1(VALU_DEP_1)
	v_add_f32_e32 v55, v166, v164
	v_fma_f32 v8, -0.5, v52, v8
	v_dual_add_f32 v52, v159, v56 :: v_dual_fmamk_f32 v165, v58, 0xbf5db3d7, v8
	v_fmac_f32_e32 v8, 0x3f5db3d7, v58
	s_delay_alu instid0(VALU_DEP_2) | instskip(SKIP_4) | instid1(VALU_DEP_1)
	v_add_f32_e32 v54, v165, v163
	s_waitcnt vmcnt(0)
	ds_store_2addr_b64 v167, v[52:53], v[54:55] offset1:10
	v_sub_f32_e32 v53, v59, v57
	v_dual_mul_f32 v57, 0xbf5db3d7, v158 :: v_dual_sub_f32 v52, v159, v56
	v_dual_mul_f32 v56, -0.5, v158 :: v_dual_fmac_f32 v57, -0.5, v157
	s_delay_alu instid0(VALU_DEP_1) | instskip(NEXT) | instid1(VALU_DEP_2)
	v_fmac_f32_e32 v56, 0x3f5db3d7, v157
	v_add_f32_e32 v54, v8, v57
	s_delay_alu instid0(VALU_DEP_2)
	v_dual_sub_f32 v8, v8, v57 :: v_dual_add_f32 v55, v9, v56
	v_add_f32_e32 v57, v151, v154
	ds_store_2addr_b64 v167, v[54:55], v[52:53] offset0:20 offset1:30
	v_dual_sub_f32 v52, v165, v163 :: v_dual_sub_f32 v53, v166, v164
	v_sub_f32_e32 v55, v152, v156
	v_sub_f32_e32 v9, v9, v56
	v_fma_f32 v57, -0.5, v57, v4
	v_add_f32_e32 v56, v4, v151
	v_sub_f32_e32 v58, v151, v154
	ds_store_2addr_b64 v167, v[52:53], v[8:9] offset0:40 offset1:50
	v_add_f32_e32 v9, v147, v153
	v_add_f32_e32 v53, v5, v152
	v_add_f32_e32 v8, v153, v50
	s_delay_alu instid0(VALU_DEP_3) | instskip(NEXT) | instid1(VALU_DEP_3)
	v_add_f32_e32 v59, v9, v50
	v_add_f32_e32 v53, v53, v156
	;; [unrolled: 1-line block ×3, first 2 shown]
	v_dual_sub_f32 v50, v153, v50 :: v_dual_fmamk_f32 v153, v55, 0xbf5db3d7, v57
	v_dual_fmac_f32 v147, -0.5, v8 :: v_dual_add_f32 v8, v146, v155
	s_delay_alu instid0(VALU_DEP_3) | instskip(SKIP_2) | instid1(VALU_DEP_4)
	v_fma_f32 v54, -0.5, v54, v5
	v_dual_add_f32 v56, v56, v154 :: v_dual_fmac_f32 v57, 0x3f5db3d7, v55
	v_add_f32_e32 v5, v53, v59
	v_add_f32_e32 v52, v8, v51
	s_delay_alu instid0(VALU_DEP_4)
	v_fmamk_f32 v154, v58, 0x3f5db3d7, v54
	v_add_f32_e32 v8, v155, v51
	v_sub_f32_e32 v51, v155, v51
	scratch_load_b32 v155, off, off offset:344 ; 4-byte Folded Reload
	v_fmac_f32_e32 v54, 0xbf5db3d7, v58
	v_fmac_f32_e32 v146, -0.5, v8
	v_fmamk_f32 v8, v51, 0x3f5db3d7, v147
	v_fmac_f32_e32 v147, 0xbf5db3d7, v51
	s_delay_alu instid0(VALU_DEP_2) | instskip(NEXT) | instid1(VALU_DEP_2)
	v_mul_f32_e32 v151, 0xbf5db3d7, v8
	v_dual_mul_f32 v152, 0.5, v8 :: v_dual_mul_f32 v51, -0.5, v147
	v_fmamk_f32 v8, v50, 0xbf5db3d7, v146
	v_fmac_f32_e32 v146, 0x3f5db3d7, v50
	s_delay_alu instid0(VALU_DEP_2) | instskip(NEXT) | instid1(VALU_DEP_4)
	v_dual_mul_f32 v50, 0xbf5db3d7, v147 :: v_dual_fmac_f32 v151, 0.5, v8
	v_fmac_f32_e32 v152, 0x3f5db3d7, v8
	v_add_f32_e32 v4, v56, v52
	s_delay_alu instid0(VALU_DEP_2)
	v_dual_add_f32 v8, v153, v151 :: v_dual_add_f32 v9, v154, v152
	s_waitcnt vmcnt(0)
	ds_store_2addr_b64 v155, v[4:5], v[8:9] offset1:10
	v_sub_f32_e32 v5, v53, v59
	v_dual_sub_f32 v53, v148, v49 :: v_dual_fmac_f32 v50, -0.5, v146
	v_dual_fmac_f32 v51, 0x3f5db3d7, v146 :: v_dual_sub_f32 v4, v56, v52
	s_delay_alu instid0(VALU_DEP_1)
	v_dual_add_f32 v8, v57, v50 :: v_dual_add_f32 v9, v54, v51
	ds_store_2addr_b64 v155, v[8:9], v[4:5] offset0:20 offset1:30
	v_sub_f32_e32 v8, v57, v50
	scratch_load_b32 v57, off, off offset:348 ; 4-byte Folded Reload
	v_dual_sub_f32 v4, v153, v151 :: v_dual_sub_f32 v5, v154, v152
	v_sub_f32_e32 v9, v54, v51
	v_sub_f32_e32 v50, v38, v149
	ds_store_2addr_b64 v155, v[4:5], v[8:9] offset0:40 offset1:50
	v_add_f32_e32 v4, v39, v150
	v_add_f32_e32 v5, v7, v39
	v_dual_add_f32 v8, v36, v35 :: v_dual_add_f32 v9, v37, v148
	v_sub_f32_e32 v39, v39, v150
	s_delay_alu instid0(VALU_DEP_4) | instskip(SKIP_1) | instid1(VALU_DEP_2)
	v_fmac_f32_e32 v7, -0.5, v4
	v_add_f32_e32 v4, v35, v48
	v_dual_sub_f32 v35, v35, v48 :: v_dual_fmamk_f32 v56, v50, 0x3f5db3d7, v7
	s_delay_alu instid0(VALU_DEP_2) | instskip(SKIP_2) | instid1(VALU_DEP_2)
	v_dual_fmac_f32 v7, 0xbf5db3d7, v50 :: v_dual_fmac_f32 v36, -0.5, v4
	v_add_f32_e32 v4, v148, v49
	v_add_f32_e32 v49, v9, v49
	v_dual_fmac_f32 v37, -0.5, v4 :: v_dual_add_f32 v4, v6, v38
	s_delay_alu instid0(VALU_DEP_1) | instskip(NEXT) | instid1(VALU_DEP_1)
	v_dual_add_f32 v51, v4, v149 :: v_dual_fmamk_f32 v4, v35, 0x3f5db3d7, v37
	v_dual_fmac_f32 v37, 0xbf5db3d7, v35 :: v_dual_mul_f32 v54, 0xbf5db3d7, v4
	v_mul_f32_e32 v55, 0.5, v4
	s_delay_alu instid0(VALU_DEP_2) | instskip(SKIP_3) | instid1(VALU_DEP_3)
	v_mul_f32_e32 v35, -0.5, v37
	v_dual_mul_f32 v37, 0xbf5db3d7, v37 :: v_dual_fmamk_f32 v4, v53, 0xbf5db3d7, v36
	v_fmac_f32_e32 v36, 0x3f5db3d7, v53
	v_add_f32_e32 v48, v8, v48
	v_fmac_f32_e32 v54, 0.5, v4
	s_delay_alu instid0(VALU_DEP_3) | instskip(SKIP_1) | instid1(VALU_DEP_4)
	v_dual_fmac_f32 v35, 0x3f5db3d7, v36 :: v_dual_add_f32 v38, v38, v149
	v_dual_fmac_f32 v55, 0x3f5db3d7, v4 :: v_dual_add_f32 v52, v5, v150
	v_add_f32_e32 v4, v51, v48
	v_fmac_f32_e32 v37, -0.5, v36
	s_delay_alu instid0(VALU_DEP_4) | instskip(NEXT) | instid1(VALU_DEP_4)
	v_fma_f32 v6, -0.5, v38, v6
	v_add_f32_e32 v9, v56, v55
	v_dual_add_f32 v5, v52, v49 :: v_dual_add_f32 v36, v29, v34
	s_delay_alu instid0(VALU_DEP_3) | instskip(SKIP_1) | instid1(VALU_DEP_3)
	v_fmamk_f32 v38, v39, 0xbf5db3d7, v6
	v_fmac_f32_e32 v6, 0x3f5db3d7, v39
	v_fma_f32 v36, -0.5, v36, v0
	s_delay_alu instid0(VALU_DEP_3)
	v_add_f32_e32 v8, v38, v54
	s_waitcnt vmcnt(0)
	ds_store_2addr_b64 v57, v[4:5], v[8:9] offset1:10
	v_dual_sub_f32 v4, v51, v48 :: v_dual_sub_f32 v5, v52, v49
	v_dual_add_f32 v9, v7, v35 :: v_dual_add_f32 v8, v6, v37
	ds_store_2addr_b64 v57, v[8:9], v[4:5] offset0:20 offset1:30
	v_dual_add_f32 v8, v1, v30 :: v_dual_add_f32 v9, v30, v41
	v_dual_sub_f32 v30, v30, v41 :: v_dual_sub_f32 v5, v7, v35
	v_add_f32_e32 v35, v0, v29
	s_delay_alu instid0(VALU_DEP_3)
	v_add_f32_e32 v8, v8, v41
	scratch_load_b32 v41, off, off offset:352 ; 4-byte Folded Reload
	v_dual_sub_f32 v4, v6, v37 :: v_dual_sub_f32 v7, v56, v55
	v_add_f32_e32 v35, v35, v34
	v_sub_f32_e32 v29, v29, v34
	v_fma_f32 v9, -0.5, v9, v1
	v_sub_f32_e32 v6, v38, v54
	v_fmamk_f32 v39, v30, 0xbf5db3d7, v36
	v_fmac_f32_e32 v36, 0x3f5db3d7, v30
	ds_store_2addr_b64 v57, v[6:7], v[4:5] offset0:40 offset1:50
	v_dual_add_f32 v4, v33, v42 :: v_dual_add_f32 v5, v24, v33
	v_sub_f32_e32 v33, v33, v42
	s_delay_alu instid0(VALU_DEP_2) | instskip(SKIP_1) | instid1(VALU_DEP_4)
	v_dual_sub_f32 v7, v40, v43 :: v_dual_fmac_f32 v24, -0.5, v4
	v_add_f32_e32 v4, v21, v40
	v_add_f32_e32 v34, v5, v42
	s_delay_alu instid0(VALU_DEP_2)
	v_add_f32_e32 v6, v4, v43
	v_add_f32_e32 v4, v40, v43
	v_fmamk_f32 v40, v29, 0x3f5db3d7, v9
	v_fmac_f32_e32 v9, 0xbf5db3d7, v29
	scratch_load_b32 v29, off, off offset:356 ; 4-byte Folded Reload
	v_dual_add_f32 v0, v35, v6 :: v_dual_fmac_f32 v21, -0.5, v4
	v_dual_fmamk_f32 v4, v7, 0x3f5db3d7, v24 :: v_dual_add_f32 v1, v8, v34
	s_delay_alu instid0(VALU_DEP_1) | instskip(SKIP_1) | instid1(VALU_DEP_4)
	v_mul_f32_e32 v37, 0xbf5db3d7, v4
	v_mul_f32_e32 v38, 0.5, v4
	v_fmamk_f32 v4, v33, 0xbf5db3d7, v21
	v_fmac_f32_e32 v21, 0x3f5db3d7, v33
	s_delay_alu instid0(VALU_DEP_2) | instskip(NEXT) | instid1(VALU_DEP_4)
	v_dual_fmac_f32 v24, 0xbf5db3d7, v7 :: v_dual_fmac_f32 v37, 0.5, v4
	v_fmac_f32_e32 v38, 0x3f5db3d7, v4
	s_delay_alu instid0(VALU_DEP_2) | instskip(NEXT) | instid1(VALU_DEP_2)
	v_dual_mul_f32 v7, -0.5, v24 :: v_dual_add_f32 v4, v39, v37
	v_add_f32_e32 v5, v40, v38
	s_delay_alu instid0(VALU_DEP_2)
	v_fmac_f32_e32 v7, 0x3f5db3d7, v21
	s_waitcnt vmcnt(1)
	ds_store_2addr_b64 v41, v[0:1], v[4:5] offset1:10
	v_sub_f32_e32 v0, v35, v6
	v_mul_f32_e32 v6, 0xbf5db3d7, v24
	v_dual_sub_f32 v24, v26, v32 :: v_dual_add_f32 v5, v9, v7
	s_delay_alu instid0(VALU_DEP_2) | instskip(NEXT) | instid1(VALU_DEP_1)
	v_dual_sub_f32 v1, v8, v34 :: v_dual_fmac_f32 v6, -0.5, v21
	v_add_f32_e32 v4, v36, v6
	ds_store_2addr_b64 v41, v[4:5], v[0:1] offset0:20 offset1:30
	v_sub_f32_e32 v1, v40, v38
	v_dual_sub_f32 v4, v36, v6 :: v_dual_sub_f32 v5, v9, v7
	v_sub_f32_e32 v6, v22, v27
	v_sub_f32_e32 v0, v39, v37
	;; [unrolled: 1-line block ×3, first 2 shown]
	v_add_f32_e32 v7, v22, v27
	ds_store_2addr_b64 v41, v[0:1], v[4:5] offset0:40 offset1:50
	v_add_f32_e32 v0, v23, v28
	v_add_f32_e32 v1, v3, v23
	v_dual_add_f32 v4, v19, v25 :: v_dual_add_f32 v5, v20, v26
	s_delay_alu instid0(VALU_DEP_3) | instskip(NEXT) | instid1(VALU_DEP_3)
	v_fmac_f32_e32 v3, -0.5, v0
	v_add_f32_e32 v21, v1, v28
	s_delay_alu instid0(VALU_DEP_2) | instskip(SKIP_1) | instid1(VALU_DEP_1)
	v_dual_add_f32 v23, v4, v31 :: v_dual_fmamk_f32 v28, v6, 0x3f5db3d7, v3
	v_dual_fmac_f32 v3, 0xbf5db3d7, v6 :: v_dual_add_f32 v0, v25, v31
	v_fmac_f32_e32 v19, -0.5, v0
	v_add_f32_e32 v0, v26, v32
	s_delay_alu instid0(VALU_DEP_1) | instskip(SKIP_3) | instid1(VALU_DEP_3)
	v_fmac_f32_e32 v20, -0.5, v0
	v_add_f32_e32 v0, v2, v22
	v_sub_f32_e32 v22, v25, v31
	v_fma_f32 v2, -0.5, v7, v2
	v_dual_add_f32 v25, v5, v32 :: v_dual_add_f32 v8, v0, v27
	s_delay_alu instid0(VALU_DEP_3) | instskip(NEXT) | instid1(VALU_DEP_3)
	v_fmamk_f32 v0, v22, 0x3f5db3d7, v20
	v_fmamk_f32 v7, v9, 0xbf5db3d7, v2
	s_delay_alu instid0(VALU_DEP_3) | instskip(SKIP_1) | instid1(VALU_DEP_4)
	v_dual_add_f32 v1, v21, v25 :: v_dual_fmac_f32 v20, 0xbf5db3d7, v22
	v_fmac_f32_e32 v2, 0x3f5db3d7, v9
	v_mul_f32_e32 v26, 0xbf5db3d7, v0
	v_dual_mul_f32 v27, 0.5, v0 :: v_dual_fmamk_f32 v0, v24, 0xbf5db3d7, v19
	v_fmac_f32_e32 v19, 0x3f5db3d7, v24
	v_mul_f32_e32 v6, -0.5, v20
	s_delay_alu instid0(VALU_DEP_3) | instskip(NEXT) | instid1(VALU_DEP_4)
	v_fmac_f32_e32 v26, 0.5, v0
	v_dual_fmac_f32 v27, 0x3f5db3d7, v0 :: v_dual_add_f32 v0, v8, v23
	s_delay_alu instid0(VALU_DEP_3) | instskip(NEXT) | instid1(VALU_DEP_2)
	v_fmac_f32_e32 v6, 0x3f5db3d7, v19
	v_dual_add_f32 v4, v7, v26 :: v_dual_add_f32 v5, v28, v27
	s_waitcnt vmcnt(0)
	ds_store_2addr_b64 v29, v[0:1], v[4:5] offset1:10
	v_sub_f32_e32 v0, v8, v23
	v_dual_mul_f32 v8, 0xbf5db3d7, v20 :: v_dual_sub_f32 v1, v21, v25
	s_delay_alu instid0(VALU_DEP_1) | instskip(NEXT) | instid1(VALU_DEP_1)
	v_dual_add_f32 v5, v3, v6 :: v_dual_fmac_f32 v8, -0.5, v19
	v_add_f32_e32 v4, v2, v8
	ds_store_2addr_b64 v29, v[4:5], v[0:1] offset0:20 offset1:30
	v_dual_sub_f32 v1, v3, v6 :: v_dual_sub_f32 v0, v2, v8
	v_dual_sub_f32 v2, v7, v26 :: v_dual_sub_f32 v3, v28, v27
	ds_store_2addr_b64 v29, v[2:3], v[0:1] offset0:40 offset1:50
	s_waitcnt lgkmcnt(0)
	s_barrier
	buffer_gl0_inv
	ds_load_2addr_b64 v[0:3], v144 offset0:104 offset1:164
	ds_load_2addr_b64 v[4:7], v16 offset0:72 offset1:132
	s_waitcnt lgkmcnt(1)
	v_mul_f32_e32 v43, v45, v1
	s_waitcnt lgkmcnt(0)
	v_dual_mul_f32 v33, v45, v3 :: v_dual_mul_f32 v54, v111, v5
	v_mul_f32_e32 v35, v99, v7
	s_delay_alu instid0(VALU_DEP_3) | instskip(NEXT) | instid1(VALU_DEP_3)
	v_fmac_f32_e32 v43, v44, v0
	v_dual_mul_f32 v0, v45, v0 :: v_dual_fmac_f32 v33, v44, v2
	s_delay_alu instid0(VALU_DEP_4) | instskip(NEXT) | instid1(VALU_DEP_4)
	v_fmac_f32_e32 v54, v110, v4
	v_fmac_f32_e32 v35, v98, v6
	s_delay_alu instid0(VALU_DEP_3) | instskip(SKIP_1) | instid1(VALU_DEP_1)
	v_fma_f32 v48, v44, v1, -v0
	v_mul_f32_e32 v0, v45, v2
	v_fma_f32 v40, v44, v3, -v0
	ds_load_2addr_b64 v[0:3], v145 offset0:80 offset1:140
	s_waitcnt lgkmcnt(0)
	v_mul_f32_e32 v146, v47, v1
	s_delay_alu instid0(VALU_DEP_1) | instskip(NEXT) | instid1(VALU_DEP_1)
	v_dual_mul_f32 v51, v47, v3 :: v_dual_fmac_f32 v146, v46, v0
	v_dual_mul_f32 v0, v47, v0 :: v_dual_fmac_f32 v51, v46, v2
	s_delay_alu instid0(VALU_DEP_1) | instskip(SKIP_1) | instid1(VALU_DEP_1)
	v_fma_f32 v147, v46, v1, -v0
	v_mul_f32_e32 v0, v47, v2
	v_fma_f32 v52, v46, v3, -v0
	ds_load_2addr_b64 v[0:3], v10 offset0:56 offset1:116
	s_waitcnt lgkmcnt(0)
	v_mul_f32_e32 v148, v61, v1
	s_delay_alu instid0(VALU_DEP_1) | instskip(NEXT) | instid1(VALU_DEP_1)
	v_dual_mul_f32 v53, v61, v3 :: v_dual_fmac_f32 v148, v60, v0
	v_dual_mul_f32 v0, v61, v0 :: v_dual_fmac_f32 v53, v60, v2
	s_delay_alu instid0(VALU_DEP_1) | instskip(SKIP_1) | instid1(VALU_DEP_1)
	;; [unrolled: 10-line block ×3, first 2 shown]
	v_fma_f32 v151, v62, v1, -v0
	v_mul_f32_e32 v0, v63, v2
	v_fma_f32 v62, v62, v3, -v0
	ds_load_2addr_b64 v[0:3], v18 offset0:96 offset1:156
	s_waitcnt lgkmcnt(0)
	v_mul_f32_e32 v29, v109, v1
	v_mul_f32_e32 v23, v97, v3
	s_delay_alu instid0(VALU_DEP_2) | instskip(NEXT) | instid1(VALU_DEP_2)
	v_fmac_f32_e32 v29, v108, v0
	v_dual_mul_f32 v0, v109, v0 :: v_dual_fmac_f32 v23, v96, v2
	s_delay_alu instid0(VALU_DEP_1) | instskip(SKIP_1) | instid1(VALU_DEP_1)
	v_fma_f32 v39, v108, v1, -v0
	v_mul_f32_e32 v0, v111, v4
	v_fma_f32 v55, v110, v5, -v0
	v_mul_f32_e32 v0, v97, v2
	s_delay_alu instid0(VALU_DEP_1) | instskip(SKIP_1) | instid1(VALU_DEP_1)
	v_fma_f32 v25, v96, v3, -v0
	v_mul_f32_e32 v0, v99, v6
	v_fma_f32 v37, v98, v7, -v0
	ds_load_2addr_b64 v[0:3], v10 offset0:176 offset1:236
	ds_load_2addr_b64 v[4:7], v12 offset0:24 offset1:84
	s_waitcnt lgkmcnt(1)
	v_mul_f32_e32 v57, v89, v1
	v_mul_f32_e32 v41, v85, v3
	s_waitcnt lgkmcnt(0)
	v_mul_f32_e32 v63, v91, v5
	s_delay_alu instid0(VALU_DEP_3) | instskip(NEXT) | instid1(VALU_DEP_3)
	v_dual_mul_f32 v46, v87, v7 :: v_dual_fmac_f32 v57, v88, v0
	v_dual_mul_f32 v0, v89, v0 :: v_dual_fmac_f32 v41, v84, v2
	s_delay_alu instid0(VALU_DEP_3) | instskip(NEXT) | instid1(VALU_DEP_3)
	v_fmac_f32_e32 v63, v90, v4
	v_fmac_f32_e32 v46, v86, v6
	s_delay_alu instid0(VALU_DEP_3) | instskip(SKIP_1) | instid1(VALU_DEP_1)
	v_fma_f32 v58, v88, v1, -v0
	v_mul_f32_e32 v0, v91, v4
	v_fma_f32 v88, v90, v5, -v0
	v_mul_f32_e32 v0, v85, v2
	s_delay_alu instid0(VALU_DEP_1) | instskip(SKIP_1) | instid1(VALU_DEP_1)
	v_fma_f32 v42, v84, v3, -v0
	v_mul_f32_e32 v0, v87, v6
	v_fma_f32 v49, v86, v7, -v0
	ds_load_2addr_b64 v[0:3], v15 offset0:88 offset1:148
	ds_load_2addr_b64 v[4:7], v16 offset0:192 offset1:252
	s_waitcnt lgkmcnt(1)
	v_mul_f32_e32 v21, v81, v1
	s_waitcnt lgkmcnt(0)
	v_dual_mul_f32 v19, v77, v3 :: v_dual_mul_f32 v32, v83, v5
	s_delay_alu instid0(VALU_DEP_2) | instskip(NEXT) | instid1(VALU_DEP_2)
	v_dual_mul_f32 v24, v79, v7 :: v_dual_fmac_f32 v21, v80, v0
	v_dual_mul_f32 v0, v81, v0 :: v_dual_fmac_f32 v19, v76, v2
	s_delay_alu instid0(VALU_DEP_3) | instskip(NEXT) | instid1(VALU_DEP_3)
	v_fmac_f32_e32 v32, v82, v4
	v_fmac_f32_e32 v24, v78, v6
	s_delay_alu instid0(VALU_DEP_3) | instskip(SKIP_1) | instid1(VALU_DEP_1)
	v_fma_f32 v22, v80, v1, -v0
	v_mul_f32_e32 v0, v83, v4
	v_fma_f32 v34, v82, v5, -v0
	v_mul_f32_e32 v0, v77, v2
	s_delay_alu instid0(VALU_DEP_1) | instskip(SKIP_1) | instid1(VALU_DEP_1)
	v_fma_f32 v20, v76, v3, -v0
	v_mul_f32_e32 v0, v79, v6
	v_fma_f32 v26, v78, v7, -v0
	ds_load_2addr_b64 v[0:3], v11 offset0:40 offset1:100
	ds_load_2addr_b64 v[4:7], v12 offset0:144 offset1:204
	s_waitcnt lgkmcnt(1)
	v_mul_f32_e32 v44, v73, v1
	s_waitcnt lgkmcnt(0)
	v_mul_f32_e32 v30, v71, v7
	s_delay_alu instid0(VALU_DEP_2) | instskip(SKIP_1) | instid1(VALU_DEP_3)
	v_dual_mul_f32 v27, v69, v3 :: v_dual_fmac_f32 v44, v72, v0
	v_mul_f32_e32 v0, v73, v0
	v_fmac_f32_e32 v30, v70, v6
	s_delay_alu instid0(VALU_DEP_3) | instskip(NEXT) | instid1(VALU_DEP_3)
	v_fmac_f32_e32 v27, v68, v2
	v_fma_f32 v45, v72, v1, -v0
	v_mul_f32_e32 v0, v75, v4
	s_delay_alu instid0(VALU_DEP_1) | instskip(SKIP_1) | instid1(VALU_DEP_1)
	v_fma_f32 v47, v74, v5, -v0
	v_mul_f32_e32 v0, v69, v2
	v_fma_f32 v28, v68, v3, -v0
	v_mul_f32_e32 v0, v71, v6
	s_delay_alu instid0(VALU_DEP_1) | instskip(SKIP_4) | instid1(VALU_DEP_1)
	v_fma_f32 v31, v70, v7, -v0
	scratch_load_b64 v[6:7], off, off offset:416 ; 8-byte Folded Reload
	ds_load_2addr_b64 v[0:3], v13 offset0:8 offset1:68
	s_waitcnt lgkmcnt(0)
	v_mul_f32_e32 v72, v248, v3
	v_fmac_f32_e32 v72, v247, v2
	v_mul_f32_e32 v50, v75, v5
	s_delay_alu instid0(VALU_DEP_1) | instskip(SKIP_1) | instid1(VALU_DEP_1)
	v_fmac_f32_e32 v50, v74, v4
	v_mul_f32_e32 v4, v248, v1
	v_fmac_f32_e32 v4, v247, v0
	v_mul_f32_e32 v0, v248, v0
	s_delay_alu instid0(VALU_DEP_1) | instskip(SKIP_1) | instid1(VALU_DEP_2)
	v_fma_f32 v5, v247, v1, -v0
	v_mul_f32_e32 v0, v248, v2
	v_sub_f32_e32 v84, v149, v5
	s_delay_alu instid0(VALU_DEP_2) | instskip(SKIP_3) | instid1(VALU_DEP_1)
	v_fma_f32 v73, v247, v3, -v0
	ds_load_2addr_b64 v[0:3], v13 offset0:128 offset1:188
	s_waitcnt vmcnt(0) lgkmcnt(0)
	v_mul_f32_e32 v70, v7, v1
	v_fmac_f32_e32 v70, v6, v0
	v_mul_f32_e32 v0, v7, v0
	v_sub_f32_e32 v76, v147, v151
	s_delay_alu instid0(VALU_DEP_2) | instskip(SKIP_4) | instid1(VALU_DEP_2)
	v_fma_f32 v71, v6, v1, -v0
	scratch_load_b64 v[6:7], off, off offset:424 ; 8-byte Folded Reload
	s_waitcnt vmcnt(0)
	v_mul_f32_e32 v68, v7, v3
	v_mul_f32_e32 v0, v7, v2
	v_fmac_f32_e32 v68, v6, v2
	s_delay_alu instid0(VALU_DEP_2) | instskip(SKIP_4) | instid1(VALU_DEP_1)
	v_fma_f32 v69, v6, v3, -v0
	scratch_load_b64 v[6:7], off, off offset:408 ; 8-byte Folded Reload
	ds_load_2addr_b64 v[0:3], v14 offset0:120 offset1:180
	s_waitcnt vmcnt(0) lgkmcnt(0)
	v_mul_f32_e32 v59, v7, v1
	v_fmac_f32_e32 v59, v6, v0
	v_mul_f32_e32 v0, v7, v0
	s_delay_alu instid0(VALU_DEP_1) | instskip(SKIP_4) | instid1(VALU_DEP_2)
	v_fma_f32 v60, v6, v1, -v0
	scratch_load_b64 v[6:7], off, off offset:396 ; 8-byte Folded Reload
	s_waitcnt vmcnt(0)
	v_mul_f32_e32 v36, v7, v3
	v_mul_f32_e32 v0, v7, v2
	v_fmac_f32_e32 v36, v6, v2
	s_delay_alu instid0(VALU_DEP_2) | instskip(SKIP_2) | instid1(VALU_DEP_1)
	v_fma_f32 v38, v6, v3, -v0
	ds_load_2addr_b64 v[6:9], v255 offset1:60
	v_dual_add_f32 v3, v48, v149 :: v_dual_add_f32 v2, v147, v151
	v_add_f32_e32 v85, v3, v5
	s_waitcnt lgkmcnt(0)
	v_dual_add_f32 v1, v7, v147 :: v_dual_add_f32 v0, v6, v146
	s_delay_alu instid0(VALU_DEP_3) | instskip(NEXT) | instid1(VALU_DEP_2)
	v_fma_f32 v90, -0.5, v2, v7
	v_add_f32_e32 v81, v1, v151
	v_dual_add_f32 v1, v149, v5 :: v_dual_sub_f32 v82, v148, v4
	s_delay_alu instid0(VALU_DEP_2) | instskip(NEXT) | instid1(VALU_DEP_2)
	v_dual_add_f32 v77, v43, v148 :: v_dual_add_f32 v78, v81, v85
	v_dual_fmac_f32 v48, -0.5, v1 :: v_dual_add_f32 v1, v148, v4
	s_delay_alu instid0(VALU_DEP_2) | instskip(NEXT) | instid1(VALU_DEP_2)
	v_add_f32_e32 v83, v77, v4
	v_dual_fmac_f32 v43, -0.5, v1 :: v_dual_add_f32 v74, v0, v150
	v_add_f32_e32 v0, v146, v150
	s_delay_alu instid0(VALU_DEP_4) | instskip(SKIP_1) | instid1(VALU_DEP_4)
	v_fmamk_f32 v1, v82, 0x3f5db3d7, v48
	v_sub_f32_e32 v75, v146, v150
	v_dual_fmac_f32 v48, 0xbf5db3d7, v82 :: v_dual_add_f32 v77, v74, v83
	s_delay_alu instid0(VALU_DEP_4) | instskip(NEXT) | instid1(VALU_DEP_4)
	v_fma_f32 v89, -0.5, v0, v6
	v_mul_f32_e32 v86, 0xbf5db3d7, v1
	v_mul_f32_e32 v87, 0.5, v1
	v_fmamk_f32 v1, v84, 0xbf5db3d7, v43
	v_fmamk_f32 v96, v75, 0x3f5db3d7, v90
	v_fmamk_f32 v91, v76, 0xbf5db3d7, v89
	v_fmac_f32_e32 v89, 0x3f5db3d7, v76
	s_delay_alu instid0(VALU_DEP_4) | instskip(SKIP_3) | instid1(VALU_DEP_4)
	v_dual_fmac_f32 v43, 0x3f5db3d7, v84 :: v_dual_fmac_f32 v86, 0.5, v1
	v_fmac_f32_e32 v87, 0x3f5db3d7, v1
	v_mul_f32_e32 v76, 0xbf5db3d7, v48
	v_mul_f32_e32 v48, -0.5, v48
	v_dual_fmac_f32 v90, 0xbf5db3d7, v75 :: v_dual_add_f32 v79, v91, v86
	s_delay_alu instid0(VALU_DEP_4) | instskip(NEXT) | instid1(VALU_DEP_4)
	v_add_f32_e32 v80, v96, v87
	v_fmac_f32_e32 v76, -0.5, v43
	s_delay_alu instid0(VALU_DEP_4)
	v_fmac_f32_e32 v48, 0x3f5db3d7, v43
	ds_load_2addr_b64 v[4:7], v255 offset0:120 offset1:180
	ds_load_2addr_b64 v[0:3], v17 offset0:112 offset1:172
	s_waitcnt lgkmcnt(0)
	s_barrier
	buffer_gl0_inv
	ds_store_2addr_b64 v255, v[77:78], v[79:80] offset1:60
	v_dual_sub_f32 v77, v74, v83 :: v_dual_sub_f32 v78, v81, v85
	v_add_f32_e32 v74, v89, v76
	v_add_f32_e32 v75, v90, v48
	v_dual_sub_f32 v76, v89, v76 :: v_dual_add_f32 v43, v52, v62
	ds_store_2addr_b64 v255, v[74:75], v[77:78] offset0:120 offset1:180
	v_dual_sub_f32 v74, v91, v86 :: v_dual_sub_f32 v75, v96, v87
	v_sub_f32_e32 v77, v90, v48
	v_dual_add_f32 v48, v9, v52 :: v_dual_fmac_f32 v9, -0.5, v43
	v_add_f32_e32 v43, v8, v51
	ds_store_2addr_b64 v17, v[74:75], v[76:77] offset0:112 offset1:172
	v_add_f32_e32 v74, v51, v61
	v_sub_f32_e32 v75, v51, v61
	v_add_f32_e32 v51, v56, v73
	v_dual_add_f32 v43, v43, v61 :: v_dual_sub_f32 v76, v52, v62
	v_dual_add_f32 v52, v40, v56 :: v_dual_add_f32 v61, v33, v53
	s_delay_alu instid0(VALU_DEP_3) | instskip(SKIP_2) | instid1(VALU_DEP_3)
	v_dual_fmac_f32 v40, -0.5, v51 :: v_dual_add_f32 v51, v53, v72
	v_dual_sub_f32 v53, v53, v72 :: v_dual_sub_f32 v56, v56, v73
	v_fma_f32 v8, -0.5, v74, v8
	v_dual_add_f32 v48, v48, v62 :: v_dual_fmac_f32 v33, -0.5, v51
	s_delay_alu instid0(VALU_DEP_3) | instskip(SKIP_1) | instid1(VALU_DEP_4)
	v_fmamk_f32 v51, v53, 0x3f5db3d7, v40
	v_dual_add_f32 v72, v61, v72 :: v_dual_add_f32 v73, v52, v73
	v_fmamk_f32 v74, v76, 0xbf5db3d7, v8
	v_fmamk_f32 v79, v75, 0x3f5db3d7, v9
	s_delay_alu instid0(VALU_DEP_4) | instskip(SKIP_4) | instid1(VALU_DEP_4)
	v_mul_f32_e32 v77, 0xbf5db3d7, v51
	v_dual_mul_f32 v78, 0.5, v51 :: v_dual_fmamk_f32 v51, v56, 0xbf5db3d7, v33
	v_add_f32_e32 v52, v48, v73
	v_fmac_f32_e32 v40, 0xbf5db3d7, v53
	v_fmac_f32_e32 v33, 0x3f5db3d7, v56
	v_dual_fmac_f32 v8, 0x3f5db3d7, v76 :: v_dual_fmac_f32 v77, 0.5, v51
	v_dual_fmac_f32 v78, 0x3f5db3d7, v51 :: v_dual_add_f32 v51, v43, v72
	v_fmac_f32_e32 v9, 0xbf5db3d7, v75
	v_add_f32_e32 v53, v29, v57
	s_delay_alu instid0(VALU_DEP_3)
	v_dual_add_f32 v61, v74, v77 :: v_dual_add_f32 v62, v79, v78
	ds_store_2addr_b64 v144, v[51:52], v[61:62] offset0:104 offset1:164
	v_sub_f32_e32 v51, v43, v72
	v_mul_f32_e32 v43, 0xbf5db3d7, v40
	v_mul_f32_e32 v40, -0.5, v40
	v_sub_f32_e32 v52, v48, v73
	s_delay_alu instid0(VALU_DEP_3) | instskip(NEXT) | instid1(VALU_DEP_1)
	v_dual_sub_f32 v48, v55, v88 :: v_dual_fmac_f32 v43, -0.5, v33
	v_dual_fmac_f32 v40, 0x3f5db3d7, v33 :: v_dual_add_f32 v61, v8, v43
	s_delay_alu instid0(VALU_DEP_1)
	v_add_f32_e32 v62, v9, v40
	v_dual_sub_f32 v9, v9, v40 :: v_dual_sub_f32 v8, v8, v43
	v_dual_sub_f32 v40, v54, v63 :: v_dual_add_f32 v43, v55, v88
	ds_store_2addr_b64 v18, v[61:62], v[51:52] offset0:96 offset1:156
	v_dual_sub_f32 v51, v74, v77 :: v_dual_sub_f32 v52, v79, v78
	v_fma_f32 v43, -0.5, v43, v5
	ds_store_2addr_b64 v15, v[51:52], v[8:9] offset0:88 offset1:148
	v_dual_add_f32 v9, v5, v55 :: v_dual_add_f32 v8, v4, v54
	v_dual_add_f32 v52, v39, v58 :: v_dual_sub_f32 v55, v58, v71
	s_delay_alu instid0(VALU_DEP_2) | instskip(SKIP_1) | instid1(VALU_DEP_4)
	v_dual_fmamk_f32 v62, v40, 0x3f5db3d7, v43 :: v_dual_add_f32 v51, v9, v88
	v_add_f32_e32 v9, v58, v71
	v_add_f32_e32 v33, v8, v63
	;; [unrolled: 1-line block ×3, first 2 shown]
	v_sub_f32_e32 v54, v57, v70
	v_add_f32_e32 v53, v53, v70
	v_fmac_f32_e32 v39, -0.5, v9
	v_add_f32_e32 v9, v57, v70
	scratch_load_b32 v70, off, off offset:380 ; 4-byte Folded Reload
	v_fma_f32 v58, -0.5, v8, v4
	v_add_f32_e32 v52, v52, v71
	v_add_f32_e32 v4, v33, v53
	v_fmac_f32_e32 v29, -0.5, v9
	v_fmamk_f32 v9, v54, 0x3f5db3d7, v39
	v_fmamk_f32 v61, v48, 0xbf5db3d7, v58
	v_add_f32_e32 v5, v51, v52
	v_fmac_f32_e32 v39, 0xbf5db3d7, v54
	v_fmac_f32_e32 v58, 0x3f5db3d7, v48
	v_mul_f32_e32 v56, 0xbf5db3d7, v9
	v_mul_f32_e32 v57, 0.5, v9
	v_fmamk_f32 v9, v55, 0xbf5db3d7, v29
	v_fmac_f32_e32 v29, 0x3f5db3d7, v55
	s_delay_alu instid0(VALU_DEP_2) | instskip(NEXT) | instid1(VALU_DEP_1)
	v_dual_fmac_f32 v43, 0xbf5db3d7, v40 :: v_dual_fmac_f32 v56, 0.5, v9
	v_dual_fmac_f32 v57, 0x3f5db3d7, v9 :: v_dual_add_f32 v8, v61, v56
	s_delay_alu instid0(VALU_DEP_1)
	v_add_f32_e32 v9, v62, v57
	s_waitcnt vmcnt(0)
	v_add_nc_u32_e32 v63, 0x1400, v70
	ds_store_2addr_b64 v63, v[4:5], v[8:9] offset0:80 offset1:140
	v_sub_f32_e32 v5, v51, v52
	scratch_load_b32 v52, off, off offset:384 ; 4-byte Folded Reload
	v_dual_sub_f32 v4, v33, v53 :: v_dual_mul_f32 v33, 0xbf5db3d7, v39
	v_mul_f32_e32 v39, -0.5, v39
	s_delay_alu instid0(VALU_DEP_2) | instskip(NEXT) | instid1(VALU_DEP_2)
	v_fmac_f32_e32 v33, -0.5, v29
	v_fmac_f32_e32 v39, 0x3f5db3d7, v29
	s_delay_alu instid0(VALU_DEP_2) | instskip(NEXT) | instid1(VALU_DEP_2)
	v_dual_add_f32 v8, v58, v33 :: v_dual_add_nc_u32 v29, 0x1800, v70
	v_add_f32_e32 v9, v43, v39
	ds_store_2addr_b64 v29, v[8:9], v[4:5] offset0:72 offset1:132
	v_dual_sub_f32 v4, v61, v56 :: v_dual_sub_f32 v5, v62, v57
	v_dual_sub_f32 v8, v58, v33 :: v_dual_sub_f32 v9, v43, v39
	v_sub_f32_e32 v33, v35, v46
	v_sub_f32_e32 v39, v41, v68
	ds_store_2addr_b64 v29, v[4:5], v[8:9] offset0:192 offset1:252
	v_add_f32_e32 v4, v37, v49
	v_dual_add_f32 v5, v7, v37 :: v_dual_add_f32 v8, v25, v42
	v_add_f32_e32 v9, v23, v41
	s_delay_alu instid0(VALU_DEP_3) | instskip(NEXT) | instid1(VALU_DEP_1)
	v_dual_fmac_f32 v7, -0.5, v4 :: v_dual_add_f32 v4, v6, v35
	v_dual_add_f32 v40, v9, v68 :: v_dual_add_f32 v29, v4, v46
	v_dual_add_f32 v4, v35, v46 :: v_dual_sub_f32 v35, v37, v49
	v_add_f32_e32 v37, v5, v49
	v_add_f32_e32 v5, v42, v69
	v_fmamk_f32 v49, v33, 0x3f5db3d7, v7
	s_delay_alu instid0(VALU_DEP_4)
	v_fma_f32 v6, -0.5, v4, v6
	v_fmac_f32_e32 v7, 0xbf5db3d7, v33
	v_sub_f32_e32 v33, v45, v60
	v_fmac_f32_e32 v25, -0.5, v5
	v_add_f32_e32 v5, v41, v68
	v_sub_f32_e32 v41, v42, v69
	v_add_f32_e32 v42, v8, v69
	v_fmamk_f32 v48, v35, 0xbf5db3d7, v6
	s_delay_alu instid0(VALU_DEP_4) | instskip(SKIP_3) | instid1(VALU_DEP_3)
	v_dual_add_f32 v4, v29, v40 :: v_dual_fmac_f32 v23, -0.5, v5
	v_fmamk_f32 v5, v39, 0x3f5db3d7, v25
	v_fmac_f32_e32 v25, 0xbf5db3d7, v39
	v_fmac_f32_e32 v6, 0x3f5db3d7, v35
	v_mul_f32_e32 v43, 0xbf5db3d7, v5
	v_dual_mul_f32 v46, 0.5, v5 :: v_dual_fmamk_f32 v5, v41, 0xbf5db3d7, v23
	v_fmac_f32_e32 v23, 0x3f5db3d7, v41
	s_delay_alu instid0(VALU_DEP_2) | instskip(NEXT) | instid1(VALU_DEP_3)
	v_fmac_f32_e32 v43, 0.5, v5
	v_dual_fmac_f32 v46, 0x3f5db3d7, v5 :: v_dual_add_f32 v5, v37, v42
	s_delay_alu instid0(VALU_DEP_1)
	v_dual_add_f32 v8, v48, v43 :: v_dual_add_f32 v9, v49, v46
	s_waitcnt vmcnt(0)
	v_add_nc_u32_e32 v51, 0x2000, v52
	ds_store_2addr_b64 v51, v[4:5], v[8:9] offset0:56 offset1:116
	v_sub_f32_e32 v5, v37, v42
	scratch_load_b32 v42, off, off offset:388 ; 4-byte Folded Reload
	v_dual_sub_f32 v4, v29, v40 :: v_dual_mul_f32 v29, 0xbf5db3d7, v25
	v_mul_f32_e32 v25, -0.5, v25
	s_delay_alu instid0(VALU_DEP_2) | instskip(NEXT) | instid1(VALU_DEP_1)
	v_fmac_f32_e32 v29, -0.5, v23
	v_dual_fmac_f32 v25, 0x3f5db3d7, v23 :: v_dual_add_f32 v8, v6, v29
	s_delay_alu instid0(VALU_DEP_1)
	v_add_f32_e32 v9, v7, v25
	ds_store_2addr_b64 v51, v[8:9], v[4:5] offset0:176 offset1:236
	v_sub_f32_e32 v5, v7, v25
	v_add_f32_e32 v25, v22, v45
	v_sub_f32_e32 v4, v6, v29
	v_sub_f32_e32 v6, v48, v43
	v_dual_sub_f32 v9, v34, v47 :: v_dual_add_nc_u32 v8, 0x2800, v52
	s_delay_alu instid0(VALU_DEP_4) | instskip(SKIP_2) | instid1(VALU_DEP_1)
	v_add_f32_e32 v25, v25, v60
	v_sub_f32_e32 v7, v49, v46
	v_add_f32_e32 v29, v21, v44
	v_add_f32_e32 v29, v29, v59
	s_waitcnt vmcnt(0)
	v_add_nc_u32_e32 v41, 0x2800, v42
	ds_store_2addr_b64 v8, v[6:7], v[4:5] offset0:40 offset1:100
	v_dual_add_f32 v5, v1, v34 :: v_dual_add_f32 v8, v34, v47
	v_sub_f32_e32 v7, v32, v50
	s_delay_alu instid0(VALU_DEP_2) | instskip(SKIP_1) | instid1(VALU_DEP_4)
	v_dual_add_f32 v4, v0, v32 :: v_dual_add_f32 v23, v5, v47
	v_add_f32_e32 v5, v45, v60
	v_fma_f32 v8, -0.5, v8, v1
	s_delay_alu instid0(VALU_DEP_3) | instskip(NEXT) | instid1(VALU_DEP_2)
	v_add_f32_e32 v1, v23, v25
	v_fmamk_f32 v40, v7, 0x3f5db3d7, v8
	v_fmac_f32_e32 v8, 0xbf5db3d7, v7
	v_dual_fmac_f32 v22, -0.5, v5 :: v_dual_add_f32 v5, v44, v59
	s_delay_alu instid0(VALU_DEP_1) | instskip(SKIP_2) | instid1(VALU_DEP_1)
	v_dual_fmac_f32 v21, -0.5, v5 :: v_dual_add_f32 v6, v4, v50
	v_add_f32_e32 v4, v32, v50
	v_sub_f32_e32 v32, v44, v59
	v_fmamk_f32 v5, v32, 0x3f5db3d7, v22
	v_fmac_f32_e32 v22, 0xbf5db3d7, v32
	s_delay_alu instid0(VALU_DEP_2) | instskip(SKIP_4) | instid1(VALU_DEP_3)
	v_mul_f32_e32 v34, 0xbf5db3d7, v5
	v_mul_f32_e32 v35, 0.5, v5
	v_fmamk_f32 v5, v33, 0xbf5db3d7, v21
	v_fmac_f32_e32 v21, 0x3f5db3d7, v33
	v_mul_f32_e32 v7, -0.5, v22
	v_fmac_f32_e32 v35, 0x3f5db3d7, v5
	s_delay_alu instid0(VALU_DEP_2) | instskip(SKIP_2) | instid1(VALU_DEP_4)
	v_fmac_f32_e32 v7, 0x3f5db3d7, v21
	v_fma_f32 v37, -0.5, v4, v0
	v_fmac_f32_e32 v34, 0.5, v5
	v_dual_add_f32 v0, v6, v29 :: v_dual_add_f32 v5, v40, v35
	s_delay_alu instid0(VALU_DEP_3) | instskip(SKIP_2) | instid1(VALU_DEP_3)
	v_fmamk_f32 v39, v9, 0xbf5db3d7, v37
	v_fmac_f32_e32 v37, 0x3f5db3d7, v9
	v_add_nc_u32_e32 v9, 0x3000, v42
	v_add_f32_e32 v4, v39, v34
	ds_store_2addr_b64 v41, v[0:1], v[4:5] offset0:160 offset1:220
	v_sub_f32_e32 v0, v6, v29
	v_dual_mul_f32 v6, 0xbf5db3d7, v22 :: v_dual_sub_f32 v1, v23, v25
	v_add_f32_e32 v5, v8, v7
	s_delay_alu instid0(VALU_DEP_2) | instskip(NEXT) | instid1(VALU_DEP_1)
	v_dual_sub_f32 v23, v28, v38 :: v_dual_fmac_f32 v6, -0.5, v21
	v_dual_sub_f32 v21, v27, v36 :: v_dual_add_f32 v4, v37, v6
	ds_store_2addr_b64 v9, v[4:5], v[0:1] offset0:24 offset1:84
	v_dual_sub_f32 v1, v40, v35 :: v_dual_sub_f32 v4, v37, v6
	v_dual_sub_f32 v5, v8, v7 :: v_dual_sub_f32 v0, v39, v34
	;; [unrolled: 1-line block ×3, first 2 shown]
	ds_store_2addr_b64 v9, v[0:1], v[4:5] offset0:144 offset1:204
	v_dual_add_f32 v1, v3, v26 :: v_dual_add_f32 v4, v20, v28
	v_add_f32_e32 v5, v19, v27
	s_delay_alu instid0(VALU_DEP_2) | instskip(SKIP_1) | instid1(VALU_DEP_1)
	v_add_f32_e32 v9, v1, v31
	v_add_f32_e32 v1, v28, v38
	v_dual_fmac_f32 v20, -0.5, v1 :: v_dual_add_f32 v1, v27, v36
	s_delay_alu instid0(VALU_DEP_1) | instskip(NEXT) | instid1(VALU_DEP_2)
	v_fmac_f32_e32 v19, -0.5, v1
	v_fmamk_f32 v1, v21, 0x3f5db3d7, v20
	s_delay_alu instid0(VALU_DEP_1) | instskip(NEXT) | instid1(VALU_DEP_3)
	v_dual_mul_f32 v25, 0xbf5db3d7, v1 :: v_dual_add_f32 v0, v26, v31
	v_dual_mul_f32 v26, 0.5, v1 :: v_dual_fmamk_f32 v1, v23, 0xbf5db3d7, v19
	v_fmac_f32_e32 v19, 0x3f5db3d7, v23
	s_delay_alu instid0(VALU_DEP_2) | instskip(NEXT) | instid1(VALU_DEP_4)
	v_fmac_f32_e32 v25, 0.5, v1
	v_fmac_f32_e32 v3, -0.5, v0
	v_add_f32_e32 v0, v2, v24
	v_fmac_f32_e32 v26, 0x3f5db3d7, v1
	v_add_f32_e32 v22, v5, v36
	s_delay_alu instid0(VALU_DEP_4) | instskip(NEXT) | instid1(VALU_DEP_4)
	v_fmamk_f32 v28, v7, 0x3f5db3d7, v3
	v_add_f32_e32 v6, v0, v30
	v_add_f32_e32 v0, v24, v30
	scratch_load_b32 v30, off, off offset:404 ; 4-byte Folded Reload
	v_fmac_f32_e32 v3, 0xbf5db3d7, v7
	v_dual_add_f32 v5, v28, v26 :: v_dual_fmac_f32 v20, 0xbf5db3d7, v21
	v_fma_f32 v2, -0.5, v0, v2
	s_delay_alu instid0(VALU_DEP_2) | instskip(NEXT) | instid1(VALU_DEP_2)
	v_mul_f32_e32 v7, -0.5, v20
	v_fmamk_f32 v27, v8, 0xbf5db3d7, v2
	s_delay_alu instid0(VALU_DEP_2) | instskip(SKIP_3) | instid1(VALU_DEP_1)
	v_dual_fmac_f32 v2, 0x3f5db3d7, v8 :: v_dual_fmac_f32 v7, 0x3f5db3d7, v19
	s_waitcnt vmcnt(0)
	v_add_nc_u32_e32 v29, 0x3800, v30
	v_add_f32_e32 v24, v4, v38
	v_dual_add_f32 v4, v27, v25 :: v_dual_add_f32 v1, v9, v24
	v_add_f32_e32 v0, v6, v22
	ds_store_2addr_b64 v29, v[0:1], v[4:5] offset0:8 offset1:68
	v_dual_add_f32 v5, v3, v7 :: v_dual_sub_f32 v0, v6, v22
	v_mul_f32_e32 v6, 0xbf5db3d7, v20
	s_delay_alu instid0(VALU_DEP_1) | instskip(NEXT) | instid1(VALU_DEP_1)
	v_dual_sub_f32 v1, v9, v24 :: v_dual_fmac_f32 v6, -0.5, v19
	v_add_f32_e32 v4, v2, v6
	ds_store_2addr_b64 v29, v[4:5], v[0:1] offset0:128 offset1:188
	v_dual_sub_f32 v1, v3, v7 :: v_dual_sub_f32 v0, v2, v6
	v_dual_sub_f32 v2, v27, v25 :: v_dual_sub_f32 v3, v28, v26
	v_add_nc_u32_e32 v4, 0x3c00, v30
	ds_store_2addr_b64 v4, v[2:3], v[0:1] offset0:120 offset1:180
	s_waitcnt lgkmcnt(0)
	s_barrier
	buffer_gl0_inv
	ds_load_2addr_b64 v[0:3], v144 offset0:104 offset1:164
	ds_load_2addr_b64 v[4:7], v145 offset0:80 offset1:140
	s_waitcnt lgkmcnt(1)
	v_mul_f32_e32 v68, v65, v1
	s_waitcnt lgkmcnt(0)
	v_mul_f32_e32 v72, v67, v5
	v_mul_f32_e32 v24, v121, v3
	s_delay_alu instid0(VALU_DEP_3) | instskip(SKIP_1) | instid1(VALU_DEP_4)
	v_dual_mul_f32 v41, v123, v7 :: v_dual_fmac_f32 v68, v64, v0
	v_mul_f32_e32 v0, v65, v0
	v_fmac_f32_e32 v72, v66, v4
	s_delay_alu instid0(VALU_DEP_4) | instskip(NEXT) | instid1(VALU_DEP_4)
	v_fmac_f32_e32 v24, v120, v2
	v_fmac_f32_e32 v41, v122, v6
	s_delay_alu instid0(VALU_DEP_4) | instskip(SKIP_1) | instid1(VALU_DEP_1)
	v_fma_f32 v69, v64, v1, -v0
	v_mul_f32_e32 v0, v67, v4
	v_fma_f32 v66, v66, v5, -v0
	v_mul_f32_e32 v0, v121, v2
	s_delay_alu instid0(VALU_DEP_1) | instskip(SKIP_1) | instid1(VALU_DEP_1)
	v_fma_f32 v29, v120, v3, -v0
	v_mul_f32_e32 v0, v123, v6
	v_fma_f32 v46, v122, v7, -v0
	ds_load_2addr_b64 v[0:3], v10 offset0:56 offset1:116
	ds_load_2addr_b64 v[4:7], v11 offset0:160 offset1:220
	s_waitcnt lgkmcnt(1)
	v_mul_f32_e32 v67, v137, v1
	s_waitcnt lgkmcnt(0)
	v_dual_mul_f32 v49, v125, v3 :: v_dual_mul_f32 v74, v139, v5
	s_delay_alu instid0(VALU_DEP_2) | instskip(NEXT) | instid1(VALU_DEP_2)
	v_dual_mul_f32 v52, v127, v7 :: v_dual_fmac_f32 v67, v136, v0
	v_dual_mul_f32 v0, v137, v0 :: v_dual_fmac_f32 v49, v124, v2
	s_delay_alu instid0(VALU_DEP_3) | instskip(NEXT) | instid1(VALU_DEP_3)
	v_fmac_f32_e32 v74, v138, v4
	v_fmac_f32_e32 v52, v126, v6
	s_delay_alu instid0(VALU_DEP_3) | instskip(SKIP_1) | instid1(VALU_DEP_1)
	v_fma_f32 v73, v136, v1, -v0
	v_mul_f32_e32 v0, v139, v4
	v_fma_f32 v75, v138, v5, -v0
	v_mul_f32_e32 v0, v125, v2
	s_delay_alu instid0(VALU_DEP_1) | instskip(SKIP_1) | instid1(VALU_DEP_1)
	v_fma_f32 v50, v124, v3, -v0
	v_mul_f32_e32 v0, v127, v6
	v_fma_f32 v54, v126, v7, -v0
	ds_load_2addr_b64 v[0:3], v18 offset0:96 offset1:156
	ds_load_2addr_b64 v[4:7], v16 offset0:72 offset1:132
	s_waitcnt lgkmcnt(1)
	v_mul_f32_e32 v38, v141, v1
	s_waitcnt lgkmcnt(0)
	v_dual_mul_f32 v8, v101, v3 :: v_dual_mul_f32 v39, v143, v5
	s_delay_alu instid0(VALU_DEP_2) | instskip(SKIP_1) | instid1(VALU_DEP_3)
	v_dual_mul_f32 v21, v103, v7 :: v_dual_fmac_f32 v38, v140, v0
	v_mul_f32_e32 v0, v141, v0
	v_dual_fmac_f32 v8, v100, v2 :: v_dual_fmac_f32 v39, v142, v4
	s_delay_alu instid0(VALU_DEP_3) | instskip(NEXT) | instid1(VALU_DEP_3)
	v_fmac_f32_e32 v21, v102, v6
	v_fma_f32 v42, v140, v1, -v0
	v_mul_f32_e32 v0, v143, v4
	s_delay_alu instid0(VALU_DEP_1) | instskip(SKIP_1) | instid1(VALU_DEP_1)
	v_fma_f32 v40, v142, v5, -v0
	v_mul_f32_e32 v0, v101, v2
	v_fma_f32 v9, v100, v3, -v0
	v_mul_f32_e32 v0, v103, v6
	s_delay_alu instid0(VALU_DEP_1)
	v_fma_f32 v25, v102, v7, -v0
	ds_load_2addr_b64 v[0:3], v10 offset0:176 offset1:236
	ds_load_2addr_b64 v[4:7], v12 offset0:24 offset1:84
	s_waitcnt lgkmcnt(1)
	v_mul_f32_e32 v60, v133, v1
	v_mul_f32_e32 v27, v113, v3
	s_waitcnt lgkmcnt(0)
	v_mul_f32_e32 v53, v135, v5
	v_mul_f32_e32 v30, v115, v7
	v_fmac_f32_e32 v60, v132, v0
	v_dual_mul_f32 v0, v133, v0 :: v_dual_fmac_f32 v27, v112, v2
	s_delay_alu instid0(VALU_DEP_4) | instskip(NEXT) | instid1(VALU_DEP_4)
	v_fmac_f32_e32 v53, v134, v4
	v_fmac_f32_e32 v30, v114, v6
	s_delay_alu instid0(VALU_DEP_3) | instskip(SKIP_1) | instid1(VALU_DEP_4)
	v_fma_f32 v61, v132, v1, -v0
	v_mul_f32_e32 v0, v135, v4
	v_sub_f32_e32 v79, v39, v53
	s_delay_alu instid0(VALU_DEP_2) | instskip(SKIP_1) | instid1(VALU_DEP_2)
	v_fma_f32 v55, v134, v5, -v0
	v_mul_f32_e32 v0, v113, v2
	v_sub_f32_e32 v78, v40, v55
	s_delay_alu instid0(VALU_DEP_2) | instskip(SKIP_1) | instid1(VALU_DEP_1)
	v_fma_f32 v28, v112, v3, -v0
	v_mul_f32_e32 v0, v115, v6
	v_fma_f32 v35, v114, v7, -v0
	ds_load_2addr_b64 v[0:3], v15 offset0:88 offset1:148
	ds_load_2addr_b64 v[4:7], v16 offset0:192 offset1:252
	s_waitcnt lgkmcnt(1)
	v_mul_f32_e32 v19, v129, v1
	v_mul_f32_e32 v18, v93, v3
	s_waitcnt lgkmcnt(0)
	v_mul_f32_e32 v32, v131, v5
	s_delay_alu instid0(VALU_DEP_3) | instskip(SKIP_2) | instid1(VALU_DEP_4)
	v_dual_mul_f32 v26, v95, v7 :: v_dual_fmac_f32 v19, v128, v0
	v_mul_f32_e32 v0, v129, v0
	v_fmac_f32_e32 v18, v92, v2
	v_fmac_f32_e32 v32, v130, v4
	s_delay_alu instid0(VALU_DEP_4) | instskip(NEXT) | instid1(VALU_DEP_4)
	v_fmac_f32_e32 v26, v94, v6
	v_fma_f32 v22, v128, v1, -v0
	v_mul_f32_e32 v0, v131, v4
	s_delay_alu instid0(VALU_DEP_1) | instskip(SKIP_1) | instid1(VALU_DEP_1)
	v_fma_f32 v37, v130, v5, -v0
	v_mul_f32_e32 v0, v93, v2
	v_fma_f32 v20, v92, v3, -v0
	v_mul_f32_e32 v0, v95, v6
	s_delay_alu instid0(VALU_DEP_1)
	v_fma_f32 v23, v94, v7, -v0
	ds_load_2addr_b64 v[0:3], v11 offset0:40 offset1:100
	ds_load_2addr_b64 v[4:7], v12 offset0:144 offset1:204
	s_waitcnt lgkmcnt(1)
	v_mul_f32_e32 v47, v117, v1
	s_waitcnt lgkmcnt(0)
	v_dual_mul_f32 v48, v119, v5 :: v_dual_mul_f32 v33, v105, v3
	s_delay_alu instid0(VALU_DEP_2) | instskip(SKIP_1) | instid1(VALU_DEP_3)
	v_fmac_f32_e32 v47, v116, v0
	v_mul_f32_e32 v0, v117, v0
	v_dual_fmac_f32 v48, v118, v4 :: v_dual_fmac_f32 v33, v104, v2
	s_delay_alu instid0(VALU_DEP_2) | instskip(SKIP_1) | instid1(VALU_DEP_1)
	v_fma_f32 v45, v116, v1, -v0
	v_mul_f32_e32 v0, v119, v4
	v_fma_f32 v51, v118, v5, -v0
	scratch_load_b64 v[4:5], off, off offset:432 ; 8-byte Folded Reload
	v_mul_f32_e32 v0, v105, v2
	s_delay_alu instid0(VALU_DEP_1) | instskip(SKIP_1) | instid1(VALU_DEP_1)
	v_fma_f32 v34, v104, v3, -v0
	v_mul_f32_e32 v0, v107, v6
	v_fma_f32 v31, v106, v7, -v0
	ds_load_2addr_b64 v[0:3], v13 offset0:8 offset1:68
	s_waitcnt vmcnt(0) lgkmcnt(0)
	v_mul_f32_e32 v76, v5, v1
	s_delay_alu instid0(VALU_DEP_1) | instskip(SKIP_1) | instid1(VALU_DEP_1)
	v_fmac_f32_e32 v76, v4, v0
	v_mul_f32_e32 v0, v5, v0
	v_fma_f32 v77, v4, v1, -v0
	scratch_load_b64 v[4:5], off, off offset:440 ; 8-byte Folded Reload
	s_waitcnt vmcnt(0)
	v_mul_f32_e32 v65, v5, v3
	v_mul_f32_e32 v0, v5, v2
	s_delay_alu instid0(VALU_DEP_2) | instskip(NEXT) | instid1(VALU_DEP_2)
	v_fmac_f32_e32 v65, v4, v2
	v_fma_f32 v64, v4, v3, -v0
	ds_load_2addr_b64 v[0:3], v13 offset0:128 offset1:188
	s_waitcnt lgkmcnt(0)
	v_dual_mul_f32 v62, v225, v1 :: v_dual_mul_f32 v59, v223, v3
	s_delay_alu instid0(VALU_DEP_1) | instskip(NEXT) | instid1(VALU_DEP_2)
	v_fmac_f32_e32 v62, v224, v0
	v_dual_mul_f32 v0, v225, v0 :: v_dual_fmac_f32 v59, v222, v2
	s_delay_alu instid0(VALU_DEP_1) | instskip(SKIP_1) | instid1(VALU_DEP_1)
	v_fma_f32 v63, v224, v1, -v0
	v_mul_f32_e32 v0, v223, v2
	v_fma_f32 v58, v222, v3, -v0
	ds_load_2addr_b64 v[0:3], v14 offset0:120 offset1:180
	s_waitcnt lgkmcnt(0)
	v_mul_f32_e32 v57, v227, v1
	v_mul_f32_e32 v43, v221, v3
	s_delay_alu instid0(VALU_DEP_2) | instskip(NEXT) | instid1(VALU_DEP_2)
	v_dual_mul_f32 v36, v107, v7 :: v_dual_fmac_f32 v57, v226, v0
	v_dual_mul_f32 v0, v227, v0 :: v_dual_fmac_f32 v43, v220, v2
	s_delay_alu instid0(VALU_DEP_2) | instskip(SKIP_1) | instid1(VALU_DEP_3)
	v_fmac_f32_e32 v36, v106, v6
	v_add_f32_e32 v6, v68, v67
	v_fma_f32 v56, v226, v1, -v0
	v_mul_f32_e32 v0, v221, v2
	s_delay_alu instid0(VALU_DEP_3) | instskip(SKIP_1) | instid1(VALU_DEP_3)
	v_add_f32_e32 v70, v6, v76
	v_add_f32_e32 v6, v69, v73
	v_fma_f32 v44, v220, v3, -v0
	ds_load_2addr_b64 v[2:5], v255 offset1:60
	v_add_f32_e32 v71, v6, v77
	s_waitcnt lgkmcnt(0)
	v_dual_add_f32 v0, v2, v72 :: v_dual_add_f32 v1, v3, v66
	s_delay_alu instid0(VALU_DEP_1) | instskip(NEXT) | instid1(VALU_DEP_1)
	v_dual_add_f32 v0, v0, v74 :: v_dual_add_f32 v1, v1, v75
	v_dual_add_f32 v6, v0, v70 :: v_dual_add_f32 v7, v1, v71
	v_dual_sub_f32 v70, v0, v70 :: v_dual_sub_f32 v71, v1, v71
	v_add_f32_e32 v0, v66, v75
	v_dual_sub_f32 v1, v66, v75 :: v_dual_add_f32 v66, v73, v77
	v_sub_f32_e32 v75, v67, v76
	s_delay_alu instid0(VALU_DEP_3) | instskip(NEXT) | instid1(VALU_DEP_3)
	v_fma_f32 v0, -0.5, v0, v3
	v_dual_fmac_f32 v69, -0.5, v66 :: v_dual_add_f32 v66, v67, v76
	v_dual_add_f32 v67, v72, v74 :: v_dual_sub_f32 v76, v73, v77
	v_sub_f32_e32 v74, v72, v74
	s_delay_alu instid0(VALU_DEP_3) | instskip(NEXT) | instid1(VALU_DEP_4)
	v_fmac_f32_e32 v68, -0.5, v66
	v_fmamk_f32 v66, v75, 0x3f5db3d7, v69
	s_delay_alu instid0(VALU_DEP_4)
	v_fma_f32 v2, -0.5, v67, v2
	v_fmac_f32_e32 v69, 0xbf5db3d7, v75
	v_fmamk_f32 v77, v74, 0x3f5db3d7, v0
	v_fmac_f32_e32 v0, 0xbf5db3d7, v74
	v_mul_f32_e32 v72, 0xbf5db3d7, v66
	v_dual_mul_f32 v73, 0.5, v66 :: v_dual_fmamk_f32 v66, v76, 0xbf5db3d7, v68
	v_fmamk_f32 v3, v1, 0xbf5db3d7, v2
	v_fmac_f32_e32 v2, 0x3f5db3d7, v1
	v_fmac_f32_e32 v68, 0x3f5db3d7, v76
	s_delay_alu instid0(VALU_DEP_4) | instskip(SKIP_1) | instid1(VALU_DEP_2)
	v_dual_mul_f32 v1, 0xbf5db3d7, v69 :: v_dual_fmac_f32 v72, 0.5, v66
	v_fmac_f32_e32 v73, 0x3f5db3d7, v66
	v_fmac_f32_e32 v1, -0.5, v68
	s_delay_alu instid0(VALU_DEP_3) | instskip(SKIP_1) | instid1(VALU_DEP_4)
	v_add_f32_e32 v66, v3, v72
	v_dual_sub_f32 v72, v3, v72 :: v_dual_mul_f32 v3, -0.5, v69
	v_add_f32_e32 v67, v77, v73
	v_sub_f32_e32 v73, v77, v73
	s_delay_alu instid0(VALU_DEP_3) | instskip(NEXT) | instid1(VALU_DEP_1)
	v_dual_sub_f32 v74, v2, v1 :: v_dual_fmac_f32 v3, 0x3f5db3d7, v68
	v_dual_add_f32 v68, v2, v1 :: v_dual_add_f32 v69, v0, v3
	v_sub_f32_e32 v75, v0, v3
	ds_load_2addr_b64 v[0:3], v255 offset0:120 offset1:180
	ds_store_b64 v255, v[66:67] offset:2880
	ds_store_b64 v255, v[68:69] offset:5760
	ds_load_2addr_b64 v[66:69], v17 offset0:112 offset1:172
	ds_store_b64 v255, v[70:71] offset:8640
	ds_store_b64 v255, v[72:73] offset:11520
	;; [unrolled: 1-line block ×3, first 2 shown]
	v_add_f32_e32 v70, v4, v41
	s_delay_alu instid0(VALU_DEP_1) | instskip(SKIP_1) | instid1(VALU_DEP_1)
	v_add_f32_e32 v72, v70, v52
	v_add_f32_e32 v70, v5, v46
	v_dual_add_f32 v73, v70, v54 :: v_dual_add_f32 v70, v24, v49
	s_delay_alu instid0(VALU_DEP_1) | instskip(SKIP_1) | instid1(VALU_DEP_1)
	v_add_f32_e32 v74, v70, v65
	v_add_f32_e32 v70, v29, v50
	v_dual_add_f32 v75, v70, v64 :: v_dual_add_f32 v70, v72, v74
	s_delay_alu instid0(VALU_DEP_1)
	v_add_f32_e32 v71, v73, v75
	ds_store_2addr_b64 v255, v[6:7], v[70:71] offset1:60
	v_dual_sub_f32 v6, v72, v74 :: v_dual_sub_f32 v7, v73, v75
	v_add_f32_e32 v70, v42, v61
	v_add_f32_e32 v71, v38, v60
	ds_store_b64 v255, v[6:7] offset:9120
	v_add_f32_e32 v6, v46, v54
	v_sub_f32_e32 v46, v46, v54
	v_sub_f32_e32 v54, v49, v65
	v_add_f32_e32 v7, v41, v52
	v_sub_f32_e32 v41, v41, v52
	v_dual_fmac_f32 v5, -0.5, v6 :: v_dual_add_f32 v6, v50, v64
	v_sub_f32_e32 v52, v50, v64
	s_delay_alu instid0(VALU_DEP_4) | instskip(NEXT) | instid1(VALU_DEP_3)
	v_fma_f32 v4, -0.5, v7, v4
	v_fmamk_f32 v75, v41, 0x3f5db3d7, v5
	s_delay_alu instid0(VALU_DEP_4) | instskip(NEXT) | instid1(VALU_DEP_3)
	v_dual_fmac_f32 v29, -0.5, v6 :: v_dual_add_f32 v6, v49, v65
	v_dual_add_f32 v49, v39, v53 :: v_dual_fmamk_f32 v74, v46, 0xbf5db3d7, v4
	v_fmac_f32_e32 v4, 0x3f5db3d7, v46
	s_delay_alu instid0(VALU_DEP_3) | instskip(NEXT) | instid1(VALU_DEP_4)
	v_dual_fmac_f32 v5, 0xbf5db3d7, v41 :: v_dual_fmac_f32 v24, -0.5, v6
	v_fmamk_f32 v6, v54, 0x3f5db3d7, v29
	s_waitcnt lgkmcnt(8)
	v_fma_f32 v76, -0.5, v49, v0
	v_add_f32_e32 v49, v40, v55
	v_dual_fmac_f32 v29, 0xbf5db3d7, v54 :: v_dual_add_f32 v0, v0, v39
	v_mul_f32_e32 v64, 0xbf5db3d7, v6
	v_dual_mul_f32 v65, 0.5, v6 :: v_dual_fmamk_f32 v6, v52, 0xbf5db3d7, v24
	s_delay_alu instid0(VALU_DEP_4)
	v_fma_f32 v77, -0.5, v49, v1
	v_fmamk_f32 v80, v78, 0xbf5db3d7, v76
	v_fmac_f32_e32 v24, 0x3f5db3d7, v52
	v_mul_f32_e32 v46, 0xbf5db3d7, v29
	v_fmac_f32_e32 v64, 0.5, v6
	v_dual_fmac_f32 v65, 0x3f5db3d7, v6 :: v_dual_add_f32 v6, v61, v63
	v_sub_f32_e32 v61, v61, v63
	v_fmamk_f32 v81, v79, 0x3f5db3d7, v77
	v_mul_f32_e32 v29, -0.5, v29
	s_delay_alu instid0(VALU_DEP_4) | instskip(SKIP_4) | instid1(VALU_DEP_4)
	v_dual_add_f32 v7, v75, v65 :: v_dual_fmac_f32 v42, -0.5, v6
	v_add_f32_e32 v6, v60, v62
	v_sub_f32_e32 v60, v60, v62
	v_fmac_f32_e32 v46, -0.5, v24
	v_dual_fmac_f32 v29, 0x3f5db3d7, v24 :: v_dual_fmac_f32 v76, 0x3f5db3d7, v78
	v_fmac_f32_e32 v38, -0.5, v6
	s_delay_alu instid0(VALU_DEP_4) | instskip(SKIP_1) | instid1(VALU_DEP_2)
	v_fmamk_f32 v6, v60, 0x3f5db3d7, v42
	v_dual_fmac_f32 v42, 0xbf5db3d7, v60 :: v_dual_fmac_f32 v77, 0xbf5db3d7, v79
	v_mul_f32_e32 v72, 0xbf5db3d7, v6
	s_delay_alu instid0(VALU_DEP_4) | instskip(SKIP_1) | instid1(VALU_DEP_4)
	v_dual_mul_f32 v73, 0.5, v6 :: v_dual_fmamk_f32 v6, v61, 0xbf5db3d7, v38
	v_fmac_f32_e32 v38, 0x3f5db3d7, v61
	v_mul_f32_e32 v24, 0xbf5db3d7, v42
	s_delay_alu instid0(VALU_DEP_3) | instskip(NEXT) | instid1(VALU_DEP_4)
	v_fmac_f32_e32 v72, 0.5, v6
	v_dual_fmac_f32 v73, 0x3f5db3d7, v6 :: v_dual_add_f32 v6, v74, v64
	s_delay_alu instid0(VALU_DEP_2) | instskip(NEXT) | instid1(VALU_DEP_1)
	v_dual_fmac_f32 v24, -0.5, v38 :: v_dual_add_f32 v49, v80, v72
	v_dual_add_f32 v50, v81, v73 :: v_dual_add_f32 v41, v76, v24
	ds_store_2addr_b64 v144, v[6:7], v[49:50] offset0:164 offset1:224
	v_dual_mul_f32 v49, -0.5, v42 :: v_dual_add_f32 v50, v70, v63
	v_dual_add_f32 v6, v4, v46 :: v_dual_add_f32 v7, v5, v29
	s_delay_alu instid0(VALU_DEP_2) | instskip(SKIP_2) | instid1(VALU_DEP_2)
	v_dual_fmac_f32 v49, 0x3f5db3d7, v38 :: v_dual_add_f32 v38, v0, v53
	v_add_f32_e32 v0, v1, v40
	v_add_f32_e32 v40, v71, v62
	v_dual_add_f32 v42, v77, v49 :: v_dual_add_f32 v39, v0, v55
	s_delay_alu instid0(VALU_DEP_2)
	v_sub_f32_e32 v0, v38, v40
	ds_store_2addr_b64 v16, v[6:7], v[41:42] offset0:12 offset1:72
	v_dual_sub_f32 v6, v74, v64 :: v_dual_sub_f32 v1, v39, v50
	v_sub_f32_e32 v7, v75, v65
	v_dual_sub_f32 v41, v80, v72 :: v_dual_sub_f32 v42, v81, v73
	ds_store_b64 v255, v[0:1] offset:9600
	v_dual_sub_f32 v1, v5, v29 :: v_dual_add_nc_u32 v0, 0x2c00, v255
	v_sub_f32_e32 v5, v77, v49
	ds_store_2addr_b64 v0, v[6:7], v[41:42] offset0:92 offset1:152
	v_sub_f32_e32 v0, v4, v46
	v_sub_f32_e32 v4, v76, v24
	ds_store_2addr_b64 v13, v[0:1], v[4:5] offset0:68 offset1:128
	v_add_f32_e32 v4, v2, v21
	v_dual_add_f32 v0, v38, v40 :: v_dual_add_f32 v1, v39, v50
	v_add_nc_u32_e32 v38, 0x2400, v255
	s_delay_alu instid0(VALU_DEP_3) | instskip(SKIP_1) | instid1(VALU_DEP_1)
	v_add_f32_e32 v6, v4, v30
	v_add_f32_e32 v4, v3, v25
	;; [unrolled: 1-line block ×4, first 2 shown]
	s_delay_alu instid0(VALU_DEP_1) | instskip(SKIP_1) | instid1(VALU_DEP_1)
	v_add_f32_e32 v24, v4, v59
	v_add_f32_e32 v4, v9, v28
	v_dual_add_f32 v29, v4, v58 :: v_dual_add_f32 v4, v6, v24
	s_delay_alu instid0(VALU_DEP_1) | instskip(SKIP_4) | instid1(VALU_DEP_2)
	v_add_f32_e32 v5, v7, v29
	ds_store_2addr_b64 v255, v[0:1], v[4:5] offset0:120 offset1:180
	s_waitcnt lgkmcnt(11)
	v_add_f32_e32 v4, v66, v32
	v_dual_sub_f32 v0, v6, v24 :: v_dual_sub_f32 v1, v7, v29
	v_add_f32_e32 v6, v4, v48
	v_add_f32_e32 v4, v67, v37
	s_delay_alu instid0(VALU_DEP_1) | instskip(SKIP_1) | instid1(VALU_DEP_1)
	v_add_f32_e32 v7, v4, v51
	v_add_f32_e32 v4, v19, v47
	;; [unrolled: 1-line block ×4, first 2 shown]
	s_delay_alu instid0(VALU_DEP_1) | instskip(NEXT) | instid1(VALU_DEP_1)
	v_add_f32_e32 v29, v4, v56
	v_dual_sub_f32 v4, v6, v24 :: v_dual_sub_f32 v5, v7, v29
	ds_store_2addr_b64 v38, v[0:1], v[4:5] offset0:108 offset1:168
	v_add_f32_e32 v4, v68, v26
	v_dual_add_f32 v0, v6, v24 :: v_dual_add_f32 v1, v7, v29
	v_sub_f32_e32 v38, v45, v56
	s_delay_alu instid0(VALU_DEP_3) | instskip(SKIP_1) | instid1(VALU_DEP_1)
	v_add_f32_e32 v6, v4, v36
	v_add_f32_e32 v4, v69, v23
	v_dual_add_f32 v7, v4, v31 :: v_dual_add_f32 v4, v18, v33
	s_delay_alu instid0(VALU_DEP_1) | instskip(SKIP_1) | instid1(VALU_DEP_1)
	v_add_f32_e32 v24, v4, v43
	v_add_f32_e32 v4, v20, v34
	v_add_f32_e32 v29, v4, v44
	s_delay_alu instid0(VALU_DEP_1)
	v_dual_add_f32 v4, v6, v24 :: v_dual_add_f32 v5, v7, v29
	ds_store_2addr_b64 v17, v[0:1], v[4:5] offset0:112 offset1:172
	v_add_f32_e32 v0, v25, v35
	v_sub_f32_e32 v17, v25, v35
	v_sub_f32_e32 v25, v27, v59
	v_add_f32_e32 v1, v21, v30
	v_sub_f32_e32 v21, v21, v30
	v_dual_fmac_f32 v3, -0.5, v0 :: v_dual_add_f32 v0, v28, v58
	v_add_f32_e32 v4, v45, v56
	v_sub_f32_e32 v35, v37, v51
	v_add_f32_e32 v5, v32, v48
	v_fma_f32 v2, -0.5, v1, v2
	v_dual_fmac_f32 v9, -0.5, v0 :: v_dual_add_f32 v0, v27, v59
	v_dual_sub_f32 v27, v28, v58 :: v_dual_fmac_f32 v22, -0.5, v4
	v_add_f32_e32 v4, v47, v57
	v_sub_f32_e32 v32, v32, v48
	s_delay_alu instid0(VALU_DEP_4) | instskip(SKIP_4) | instid1(VALU_DEP_4)
	v_fmac_f32_e32 v8, -0.5, v0
	v_fmamk_f32 v0, v25, 0x3f5db3d7, v9
	v_fmac_f32_e32 v9, 0xbf5db3d7, v25
	v_fmac_f32_e32 v19, -0.5, v4
	v_fma_f32 v41, -0.5, v5, v66
	v_dual_fmamk_f32 v45, v17, 0xbf5db3d7, v2 :: v_dual_mul_f32 v28, 0xbf5db3d7, v0
	v_mul_f32_e32 v30, 0.5, v0
	v_fmamk_f32 v0, v27, 0xbf5db3d7, v8
	v_fmac_f32_e32 v2, 0x3f5db3d7, v17
	v_fmac_f32_e32 v8, 0x3f5db3d7, v27
	v_mul_f32_e32 v17, 0xbf5db3d7, v9
	s_delay_alu instid0(VALU_DEP_4)
	v_dual_mul_f32 v9, -0.5, v9 :: v_dual_fmac_f32 v28, 0.5, v0
	v_fmac_f32_e32 v30, 0x3f5db3d7, v0
	v_dual_add_f32 v0, v37, v51 :: v_dual_sub_f32 v37, v47, v57
	v_fmamk_f32 v46, v21, 0x3f5db3d7, v3
	v_fmamk_f32 v47, v35, 0xbf5db3d7, v41
	v_fmac_f32_e32 v3, 0xbf5db3d7, v21
	s_delay_alu instid0(VALU_DEP_4) | instskip(SKIP_2) | instid1(VALU_DEP_3)
	v_fma_f32 v42, -0.5, v0, v67
	v_fmamk_f32 v4, v37, 0x3f5db3d7, v22
	v_dual_fmac_f32 v22, 0xbf5db3d7, v37 :: v_dual_fmac_f32 v17, -0.5, v8
	v_dual_fmac_f32 v9, 0x3f5db3d7, v8 :: v_dual_fmamk_f32 v48, v32, 0x3f5db3d7, v42
	s_delay_alu instid0(VALU_DEP_3)
	v_mul_f32_e32 v39, 0xbf5db3d7, v4
	v_mul_f32_e32 v40, 0.5, v4
	v_fmamk_f32 v4, v38, 0xbf5db3d7, v19
	v_fmac_f32_e32 v19, 0x3f5db3d7, v38
	v_mul_f32_e32 v8, 0xbf5db3d7, v22
	v_dual_mul_f32 v21, -0.5, v22 :: v_dual_add_f32 v0, v45, v28
	s_delay_alu instid0(VALU_DEP_4) | instskip(SKIP_3) | instid1(VALU_DEP_3)
	v_fmac_f32_e32 v39, 0.5, v4
	v_dual_fmac_f32 v40, 0x3f5db3d7, v4 :: v_dual_add_f32 v1, v46, v30
	v_fmac_f32_e32 v41, 0x3f5db3d7, v35
	v_fmac_f32_e32 v42, 0xbf5db3d7, v32
	v_dual_add_f32 v4, v47, v39 :: v_dual_add_f32 v5, v48, v40
	v_fmac_f32_e32 v8, -0.5, v19
	v_fmac_f32_e32 v21, 0x3f5db3d7, v19
	ds_store_2addr_b64 v15, v[0:1], v[4:5] offset0:28 offset1:88
	v_add_f32_e32 v0, v2, v17
	v_dual_add_f32 v1, v3, v9 :: v_dual_add_f32 v4, v41, v8
	v_add_f32_e32 v5, v42, v21
	ds_store_2addr_b64 v16, v[0:1], v[4:5] offset0:132 offset1:192
	v_dual_sub_f32 v0, v45, v28 :: v_dual_sub_f32 v1, v46, v30
	v_dual_sub_f32 v4, v47, v39 :: v_dual_sub_f32 v5, v48, v40
	ds_store_2addr_b64 v12, v[0:1], v[4:5] offset0:84 offset1:144
	v_sub_f32_e32 v1, v3, v9
	v_sub_f32_e32 v0, v2, v17
	v_dual_sub_f32 v2, v41, v8 :: v_dual_sub_f32 v3, v42, v21
	v_dual_sub_f32 v4, v6, v24 :: v_dual_sub_f32 v5, v7, v29
	ds_store_2addr_b64 v13, v[0:1], v[2:3] offset0:188 offset1:248
	v_add_f32_e32 v0, v23, v31
	v_sub_f32_e32 v1, v33, v43
	v_sub_f32_e32 v3, v26, v36
	v_add_f32_e32 v2, v26, v36
	s_delay_alu instid0(VALU_DEP_4) | instskip(SKIP_1) | instid1(VALU_DEP_3)
	v_fmac_f32_e32 v69, -0.5, v0
	v_add_f32_e32 v0, v34, v44
	v_fma_f32 v2, -0.5, v2, v68
	s_delay_alu instid0(VALU_DEP_2) | instskip(SKIP_2) | instid1(VALU_DEP_3)
	v_dual_fmamk_f32 v9, v3, 0x3f5db3d7, v69 :: v_dual_fmac_f32 v20, -0.5, v0
	v_add_f32_e32 v0, v33, v43
	v_fmac_f32_e32 v69, 0xbf5db3d7, v3
	v_fmamk_f32 v8, v1, 0x3f5db3d7, v20
	s_delay_alu instid0(VALU_DEP_3) | instskip(SKIP_1) | instid1(VALU_DEP_3)
	v_fmac_f32_e32 v18, -0.5, v0
	v_sub_f32_e32 v0, v34, v44
	v_dual_fmac_f32 v20, 0xbf5db3d7, v1 :: v_dual_mul_f32 v19, 0xbf5db3d7, v8
	v_mul_f32_e32 v21, 0.5, v8
	s_delay_alu instid0(VALU_DEP_3) | instskip(SKIP_1) | instid1(VALU_DEP_2)
	v_fmamk_f32 v17, v0, 0xbf5db3d7, v18
	v_fmac_f32_e32 v18, 0x3f5db3d7, v0
	v_dual_mul_f32 v0, -0.5, v20 :: v_dual_fmac_f32 v19, 0.5, v17
	s_delay_alu instid0(VALU_DEP_1) | instskip(SKIP_1) | instid1(VALU_DEP_2)
	v_dual_fmac_f32 v21, 0x3f5db3d7, v17 :: v_dual_fmac_f32 v0, 0x3f5db3d7, v18
	v_mul_f32_e32 v17, 0xbf5db3d7, v20
	v_add_f32_e32 v7, v9, v21
	s_delay_alu instid0(VALU_DEP_3) | instskip(SKIP_1) | instid1(VALU_DEP_4)
	v_add_f32_e32 v1, v69, v0
	v_dual_sub_f32 v3, v69, v0 :: v_dual_sub_f32 v0, v23, v31
	v_fmac_f32_e32 v17, -0.5, v18
	s_delay_alu instid0(VALU_DEP_2) | instskip(SKIP_1) | instid1(VALU_DEP_2)
	v_dual_sub_f32 v9, v9, v21 :: v_dual_fmamk_f32 v8, v0, 0xbf5db3d7, v2
	v_fmac_f32_e32 v2, 0x3f5db3d7, v0
	v_add_f32_e32 v6, v8, v19
	s_delay_alu instid0(VALU_DEP_2)
	v_add_f32_e32 v0, v2, v17
	v_sub_f32_e32 v8, v8, v19
	v_sub_f32_e32 v2, v2, v17
	ds_store_b64 v255, v[6:7] offset:5280
	ds_store_b64 v255, v[0:1] offset:8160
	;; [unrolled: 1-line block ×5, first 2 shown]
	s_waitcnt lgkmcnt(0)
	s_barrier
	buffer_gl0_inv
	scratch_load_b64 v[5:6], off, off offset:292 ; 8-byte Folded Reload
	ds_load_2addr_b64 v[1:4], v255 offset1:60
	s_clause 0xc
	scratch_load_b64 v[17:18], off, off offset:260
	scratch_load_b64 v[22:23], off, off offset:268
	;; [unrolled: 1-line block ×13, first 2 shown]
	s_waitcnt vmcnt(13) lgkmcnt(0)
	v_mul_f32_e32 v0, v6, v2
	s_delay_alu instid0(VALU_DEP_1) | instskip(SKIP_1) | instid1(VALU_DEP_1)
	v_fmac_f32_e32 v0, v5, v1
	v_mul_f32_e32 v1, v6, v1
	v_fma_f32 v1, v5, v2, -v1
	scratch_load_b64 v[5:6], off, off offset:284 ; 8-byte Folded Reload
	s_waitcnt vmcnt(0)
	v_mul_f32_e32 v2, v6, v4
	s_delay_alu instid0(VALU_DEP_1) | instskip(SKIP_1) | instid1(VALU_DEP_1)
	v_fmac_f32_e32 v2, v5, v3
	v_mul_f32_e32 v3, v6, v3
	v_fma_f32 v4, v5, v4, -v3
	ds_load_2addr_b64 v[5:8], v144 offset0:176 offset1:236
	s_waitcnt lgkmcnt(0)
	v_mul_f32_e32 v9, v18, v6
	v_mul_f32_e32 v3, v18, v5
	scratch_load_b64 v[18:19], off, off offset:276 ; 8-byte Folded Reload
	v_fmac_f32_e32 v9, v17, v5
	v_fma_f32 v17, v17, v6, -v3
	s_waitcnt vmcnt(0)
	v_mul_f32_e32 v3, v19, v8
	v_mul_f32_e32 v5, v19, v7
	s_delay_alu instid0(VALU_DEP_2) | instskip(NEXT) | instid1(VALU_DEP_2)
	v_fmac_f32_e32 v3, v18, v7
	v_fma_f32 v5, v18, v8, -v5
	ds_load_2addr_b64 v[18:21], v16 offset0:96 offset1:156
	s_waitcnt lgkmcnt(0)
	v_mul_f32_e32 v6, v23, v19
	v_mul_f32_e32 v7, v23, v18
	s_delay_alu instid0(VALU_DEP_2) | instskip(NEXT) | instid1(VALU_DEP_2)
	v_fmac_f32_e32 v6, v22, v18
	v_fma_f32 v7, v22, v19, -v7
	scratch_load_b64 v[22:23], off, off offset:252 ; 8-byte Folded Reload
	s_waitcnt vmcnt(0)
	v_mul_f32_e32 v18, v23, v21
	v_mul_f32_e32 v8, v23, v20
	s_delay_alu instid0(VALU_DEP_2) | instskip(NEXT) | instid1(VALU_DEP_2)
	v_fmac_f32_e32 v18, v22, v20
	v_fma_f32 v19, v22, v21, -v8
	ds_load_2addr_b64 v[20:23], v11 offset0:16 offset1:76
	s_waitcnt lgkmcnt(0)
	v_mul_f32_e32 v28, v25, v21
	v_mul_f32_e32 v8, v25, v20
	s_delay_alu instid0(VALU_DEP_2) | instskip(NEXT) | instid1(VALU_DEP_2)
	v_fmac_f32_e32 v28, v24, v20
	v_fma_f32 v29, v24, v21, -v8
	s_clause 0x1
	scratch_load_b64 v[20:21], off, off offset:244
	scratch_load_b64 v[24:25], off, off offset:212
	s_waitcnt vmcnt(1)
	v_mul_f32_e32 v8, v21, v23
	v_mul_f32_e32 v16, v21, v22
	s_delay_alu instid0(VALU_DEP_2) | instskip(NEXT) | instid1(VALU_DEP_2)
	v_fmac_f32_e32 v8, v20, v22
	v_fma_f32 v16, v20, v23, -v16
	ds_load_2addr_b64 v[20:23], v12 offset0:192 offset1:252
	s_waitcnt vmcnt(0) lgkmcnt(0)
	v_mul_f32_e32 v30, v25, v21
	s_delay_alu instid0(VALU_DEP_1) | instskip(SKIP_1) | instid1(VALU_DEP_1)
	v_fmac_f32_e32 v30, v24, v20
	v_mul_f32_e32 v20, v25, v20
	v_fma_f32 v31, v24, v21, -v20
	scratch_load_b64 v[24:25], off, off offset:236 ; 8-byte Folded Reload
	s_waitcnt vmcnt(0)
	v_mul_f32_e32 v20, v25, v23
	v_mul_f32_e32 v21, v25, v22
	s_delay_alu instid0(VALU_DEP_2) | instskip(NEXT) | instid1(VALU_DEP_2)
	v_fmac_f32_e32 v20, v24, v22
	v_fma_f32 v21, v24, v23, -v21
	ds_load_2addr_b64 v[22:25], v255 offset0:120 offset1:216
	s_waitcnt lgkmcnt(0)
	v_mul_f32_e32 v26, v33, v25
	s_delay_alu instid0(VALU_DEP_1) | instskip(SKIP_1) | instid1(VALU_DEP_1)
	v_fmac_f32_e32 v26, v32, v24
	v_mul_f32_e32 v24, v33, v24
	v_fma_f32 v27, v32, v25, -v24
	scratch_load_b64 v[24:25], off, off offset:220 ; 8-byte Folded Reload
	s_waitcnt vmcnt(0)
	v_mul_f32_e32 v32, v25, v23
	s_delay_alu instid0(VALU_DEP_1) | instskip(SKIP_1) | instid1(VALU_DEP_1)
	v_fmac_f32_e32 v32, v24, v22
	v_mul_f32_e32 v22, v25, v22
	v_fma_f32 v33, v24, v23, -v22
	ds_load_2addr_b64 v[22:25], v144 offset0:20 offset1:80
	s_waitcnt lgkmcnt(0)
	v_mul_f32_e32 v34, v36, v23
	s_delay_alu instid0(VALU_DEP_1) | instskip(SKIP_2) | instid1(VALU_DEP_2)
	v_fmac_f32_e32 v34, v35, v22
	v_mul_f32_e32 v22, v36, v22
	v_mul_f32_e32 v36, v38, v25
	v_fma_f32 v35, v35, v23, -v22
	v_mul_f32_e32 v22, v38, v24
	scratch_load_b64 v[38:39], off, off offset:140 ; 8-byte Folded Reload
	v_fmac_f32_e32 v36, v37, v24
	v_fma_f32 v37, v37, v25, -v22
	ds_load_2addr_b64 v[22:25], v15 offset0:40 offset1:136
	s_waitcnt vmcnt(0) lgkmcnt(0)
	v_mul_f32_e32 v15, v39, v25
	s_delay_alu instid0(VALU_DEP_1) | instskip(SKIP_1) | instid1(VALU_DEP_1)
	v_fmac_f32_e32 v15, v38, v24
	v_mul_f32_e32 v24, v39, v24
	v_fma_f32 v38, v38, v25, -v24
	scratch_load_b64 v[24:25], off, off offset:196 ; 8-byte Folded Reload
	s_waitcnt vmcnt(0)
	v_mul_f32_e32 v39, v25, v23
	s_delay_alu instid0(VALU_DEP_1) | instskip(SKIP_1) | instid1(VALU_DEP_1)
	v_fmac_f32_e32 v39, v24, v22
	v_mul_f32_e32 v22, v25, v22
	v_fma_f32 v40, v24, v23, -v22
	ds_load_2addr_b64 v[22:25], v145 offset0:68 offset1:128
	s_waitcnt lgkmcnt(0)
	v_mul_f32_e32 v41, v43, v23
	s_delay_alu instid0(VALU_DEP_1) | instskip(SKIP_1) | instid1(VALU_DEP_1)
	v_fmac_f32_e32 v41, v42, v22
	v_dual_mul_f32 v22, v43, v22 :: v_dual_mul_f32 v43, v45, v25
	v_fma_f32 v42, v42, v23, -v22
	v_mul_f32_e32 v22, v45, v24
	s_delay_alu instid0(VALU_DEP_3) | instskip(NEXT) | instid1(VALU_DEP_2)
	v_fmac_f32_e32 v43, v44, v24
	v_fma_f32 v44, v44, v25, -v22
	v_add_nc_u32_e32 v22, 0x1c00, v255
	ds_load_2addr_b64 v[22:25], v22 offset0:88 offset1:184
	s_waitcnt lgkmcnt(0)
	v_mul_f32_e32 v45, v47, v25
	s_delay_alu instid0(VALU_DEP_1) | instskip(SKIP_1) | instid1(VALU_DEP_1)
	v_fmac_f32_e32 v45, v46, v24
	v_mul_f32_e32 v24, v47, v24
	v_fma_f32 v46, v46, v25, -v24
	scratch_load_b64 v[24:25], off, off offset:164 ; 8-byte Folded Reload
	s_waitcnt vmcnt(0)
	v_mul_f32_e32 v47, v25, v23
	s_delay_alu instid0(VALU_DEP_1) | instskip(SKIP_1) | instid1(VALU_DEP_1)
	v_fmac_f32_e32 v47, v24, v22
	v_mul_f32_e32 v22, v25, v22
	v_fma_f32 v48, v24, v23, -v22
	ds_load_2addr_b64 v[22:25], v10 offset0:116 offset1:176
	s_waitcnt lgkmcnt(0)
	v_mul_f32_e32 v49, v51, v23
	s_delay_alu instid0(VALU_DEP_1) | instskip(SKIP_1) | instid1(VALU_DEP_1)
	v_fmac_f32_e32 v49, v50, v22
	v_dual_mul_f32 v22, v51, v22 :: v_dual_mul_f32 v51, v53, v25
	v_fma_f32 v50, v50, v23, -v22
	v_mul_f32_e32 v22, v53, v24
	s_delay_alu instid0(VALU_DEP_3) | instskip(NEXT) | instid1(VALU_DEP_2)
	v_fmac_f32_e32 v51, v52, v24
	v_fma_f32 v52, v52, v25, -v22
	ds_load_2addr_b64 v[22:25], v11 offset0:136 offset1:232
	s_waitcnt lgkmcnt(0)
	v_mul_f32_e32 v53, v55, v25
	v_mul_f32_e32 v11, v55, v24
	s_delay_alu instid0(VALU_DEP_2) | instskip(NEXT) | instid1(VALU_DEP_2)
	v_fmac_f32_e32 v53, v54, v24
	v_fma_f32 v54, v54, v25, -v11
	scratch_load_b64 v[24:25], off, off offset:148 ; 8-byte Folded Reload
	s_waitcnt vmcnt(0)
	v_mul_f32_e32 v55, v25, v23
	v_mul_f32_e32 v11, v25, v22
	s_delay_alu instid0(VALU_DEP_2) | instskip(NEXT) | instid1(VALU_DEP_2)
	v_fmac_f32_e32 v55, v24, v22
	v_fma_f32 v56, v24, v23, -v11
	ds_load_2addr_b64 v[22:25], v12 offset0:36 offset1:96
	s_waitcnt lgkmcnt(0)
	v_mul_f32_e32 v57, v59, v23
	v_mul_f32_e32 v11, v59, v22
	s_delay_alu instid0(VALU_DEP_2) | instskip(NEXT) | instid1(VALU_DEP_2)
	v_fmac_f32_e32 v57, v58, v22
	v_fma_f32 v58, v58, v23, -v11
	scratch_load_b64 v[22:23], off, off offset:108 ; 8-byte Folded Reload
	s_waitcnt vmcnt(0)
	v_mul_f32_e32 v59, v23, v25
	v_mul_f32_e32 v11, v23, v24
	s_delay_alu instid0(VALU_DEP_2) | instskip(NEXT) | instid1(VALU_DEP_2)
	v_fmac_f32_e32 v59, v22, v24
	v_fma_f32 v60, v22, v25, -v11
	ds_load_2addr_b64 v[22:25], v13 offset0:56 offset1:152
	scratch_load_b64 v[12:13], off, off offset:68 ; 8-byte Folded Reload
	s_waitcnt vmcnt(0) lgkmcnt(0)
	v_mul_f32_e32 v61, v13, v25
	v_mul_f32_e32 v11, v13, v24
	s_delay_alu instid0(VALU_DEP_2) | instskip(NEXT) | instid1(VALU_DEP_2)
	v_fmac_f32_e32 v61, v12, v24
	v_fma_f32 v62, v12, v25, -v11
	s_clause 0x1
	scratch_load_b64 v[12:13], off, off offset:132
	scratch_load_b32 v24, off, off offset:32
	s_waitcnt vmcnt(1)
	v_mul_f32_e32 v63, v13, v23
	v_mul_f32_e32 v11, v13, v22
	s_delay_alu instid0(VALU_DEP_2) | instskip(NEXT) | instid1(VALU_DEP_2)
	v_fmac_f32_e32 v63, v12, v22
	v_fma_f32 v64, v12, v23, -v11
	scratch_load_b64 v[22:23], off, off offset:76 ; 8-byte Folded Reload
	ds_load_2addr_b64 v[11:14], v14 offset0:84 offset1:144
	s_waitcnt vmcnt(0) lgkmcnt(0)
	v_mul_f32_e32 v65, v23, v12
	s_delay_alu instid0(VALU_DEP_1) | instskip(SKIP_1) | instid1(VALU_DEP_1)
	v_fmac_f32_e32 v65, v22, v11
	v_mul_f32_e32 v11, v23, v11
	v_fma_f32 v66, v22, v12, -v11
	scratch_load_b64 v[22:23], off, off offset:116 ; 8-byte Folded Reload
	s_waitcnt vmcnt(0)
	v_mul_f32_e32 v11, v23, v13
	v_mul_f32_e32 v67, v23, v14
	s_delay_alu instid0(VALU_DEP_2) | instskip(SKIP_3) | instid1(VALU_DEP_1)
	v_fma_f32 v68, v22, v14, -v11
	scratch_load_b64 v[11:12], off, off offset:24 ; 8-byte Folded Reload
	s_waitcnt vmcnt(0)
	v_dual_fmac_f32 v67, v22, v13 :: v_dual_mov_b32 v22, v11
	v_mad_u64_u32 v[11:12], null, s6, v22, 0
	s_delay_alu instid0(VALU_DEP_1) | instskip(NEXT) | instid1(VALU_DEP_1)
	v_mad_u64_u32 v[13:14], null, s7, v22, v[12:13]
	v_mov_b32_e32 v12, v13
	v_cvt_f64_f32_e32 v[13:14], v0
	v_cvt_f64_f32_e32 v[0:1], v1
	s_delay_alu instid0(VALU_DEP_3) | instskip(NEXT) | instid1(VALU_DEP_1)
	v_lshlrev_b64 v[11:12], 3, v[11:12]
	v_add_co_u32 v69, s0, s8, v11
	s_delay_alu instid0(VALU_DEP_1) | instskip(SKIP_3) | instid1(VALU_DEP_3)
	v_add_co_ci_u32_e64 v70, s0, s9, v12, s0
	v_cvt_f64_f32_e32 v[11:12], v15
	v_mul_f64 v[13:14], v[13:14], s[2:3]
	v_mul_f64 v[0:1], v[0:1], s[2:3]
	;; [unrolled: 1-line block ×3, first 2 shown]
	s_delay_alu instid0(VALU_DEP_3) | instskip(NEXT) | instid1(VALU_DEP_3)
	v_cvt_f32_f64_e32 v13, v[13:14]
	v_cvt_f32_f64_e32 v14, v[0:1]
	v_mad_u64_u32 v[0:1], null, s4, v24, 0
	s_delay_alu instid0(VALU_DEP_1) | instskip(SKIP_2) | instid1(VALU_DEP_3)
	v_mad_u64_u32 v[22:23], null, s5, v24, v[1:2]
	v_cvt_f64_f32_e32 v[24:25], v27
	v_cvt_f32_f64_e32 v11, v[11:12]
	v_mov_b32_e32 v1, v22
	v_cvt_f64_f32_e32 v[22:23], v26
	v_cvt_f64_f32_e32 v[26:27], v17
	scratch_load_b32 v17, off, off offset:52 ; 4-byte Folded Reload
	v_lshlrev_b64 v[0:1], 3, v[0:1]
	s_delay_alu instid0(VALU_DEP_1) | instskip(NEXT) | instid1(VALU_DEP_1)
	v_add_co_u32 v0, s0, v69, v0
	v_add_co_ci_u32_e64 v1, s0, v70, v1, s0
	s_mul_i32 s0, s5, 0xd8
	s_delay_alu instid0(SALU_CYCLE_1) | instskip(SKIP_1) | instid1(SALU_CYCLE_1)
	s_add_i32 s1, s1, s0
	s_mul_i32 s0, s4, 0xd8
	s_lshl_b64 s[6:7], s[0:1], 3
	global_store_b64 v[0:1], v[13:14], off
	v_add_co_u32 v0, s0, v0, s6
	s_delay_alu instid0(VALU_DEP_1)
	v_add_co_ci_u32_e64 v1, s0, s7, v1, s0
	v_cvt_f64_f32_e32 v[13:14], v46
	s_mul_i32 s1, s5, 0xfffff8a4
	v_mul_f64 v[24:25], v[24:25], s[2:3]
	v_mul_f64 v[22:23], v[22:23], s[2:3]
	;; [unrolled: 1-line block ×3, first 2 shown]
	s_delay_alu instid0(VALU_DEP_4) | instskip(NEXT) | instid1(VALU_DEP_3)
	v_mul_f64 v[13:14], v[13:14], s[2:3]
	v_cvt_f32_f64_e32 v22, v[22:23]
	v_cvt_f32_f64_e32 v23, v[24:25]
	v_cvt_f64_f32_e32 v[24:25], v9
	global_store_b64 v[0:1], v[22:23], off
	v_mul_f64 v[24:25], v[24:25], s[2:3]
	v_add_co_u32 v0, s0, v0, s6
	s_delay_alu instid0(VALU_DEP_1) | instskip(SKIP_1) | instid1(VALU_DEP_4)
	v_add_co_ci_u32_e64 v1, s0, s7, v1, s0
	v_cvt_f64_f32_e32 v[22:23], v35
	v_cvt_f32_f64_e32 v24, v[24:25]
	v_cvt_f32_f64_e32 v25, v[26:27]
	v_cvt_f64_f32_e32 v[26:27], v38
	s_delay_alu instid0(VALU_DEP_4) | instskip(SKIP_3) | instid1(VALU_DEP_1)
	v_mul_f64 v[22:23], v[22:23], s[2:3]
	global_store_b64 v[0:1], v[24:25], off
	v_mul_f64 v[26:27], v[26:27], s[2:3]
	v_add_co_u32 v0, s0, v0, s6
	v_add_co_ci_u32_e64 v1, s0, s7, v1, s0
	s_delay_alu instid0(VALU_DEP_3)
	v_cvt_f32_f64_e32 v12, v[26:27]
	v_cvt_f64_f32_e32 v[25:26], v56
	global_store_b64 v[0:1], v[11:12], off
	v_cvt_f64_f32_e32 v[11:12], v6
	v_cvt_f64_f32_e32 v[6:7], v7
	v_add_co_u32 v0, s0, v0, s6
	s_delay_alu instid0(VALU_DEP_1) | instskip(SKIP_3) | instid1(VALU_DEP_2)
	v_add_co_ci_u32_e64 v1, s0, s7, v1, s0
	v_mul_f64 v[25:26], v[25:26], s[2:3]
	v_mul_f64 v[11:12], v[11:12], s[2:3]
	;; [unrolled: 1-line block ×3, first 2 shown]
	v_cvt_f32_f64_e32 v11, v[11:12]
	s_delay_alu instid0(VALU_DEP_2)
	v_cvt_f32_f64_e32 v12, v[6:7]
	v_cvt_f64_f32_e32 v[6:7], v45
	global_store_b64 v[0:1], v[11:12], off
	v_mul_f64 v[6:7], v[6:7], s[2:3]
	v_cvt_f64_f32_e32 v[11:12], v28
	v_add_co_u32 v0, s0, v0, s6
	s_delay_alu instid0(VALU_DEP_1)
	v_add_co_ci_u32_e64 v1, s0, s7, v1, s0
	v_cvt_f64_f32_e32 v[27:28], v60
	v_cvt_f32_f64_e32 v6, v[6:7]
	v_cvt_f32_f64_e32 v7, v[13:14]
	v_cvt_f64_f32_e32 v[13:14], v29
	v_mul_f64 v[11:12], v[11:12], s[2:3]
	v_mul_f64 v[27:28], v[27:28], s[2:3]
	global_store_b64 v[0:1], v[6:7], off
	v_mul_f64 v[13:14], v[13:14], s[2:3]
	v_cvt_f32_f64_e32 v11, v[11:12]
	v_cvt_f64_f32_e32 v[6:7], v53
	v_add_co_u32 v0, s0, v0, s6
	s_delay_alu instid0(VALU_DEP_1)
	v_add_co_ci_u32_e64 v1, s0, s7, v1, s0
	v_cvt_f32_f64_e32 v12, v[13:14]
	v_cvt_f64_f32_e32 v[13:14], v54
	v_mul_f64 v[6:7], v[6:7], s[2:3]
	global_store_b64 v[0:1], v[11:12], off
	v_mul_f64 v[13:14], v[13:14], s[2:3]
	v_cvt_f32_f64_e32 v6, v[6:7]
	v_cvt_f64_f32_e32 v[11:12], v30
	v_add_co_u32 v0, s0, v0, s6
	s_delay_alu instid0(VALU_DEP_1) | instskip(SKIP_4) | instid1(VALU_DEP_4)
	v_add_co_ci_u32_e64 v1, s0, s7, v1, s0
	v_cvt_f64_f32_e32 v[29:30], v64
	v_cvt_f32_f64_e32 v7, v[13:14]
	v_cvt_f64_f32_e32 v[13:14], v31
	v_mul_f64 v[11:12], v[11:12], s[2:3]
	v_mul_f64 v[29:30], v[29:30], s[2:3]
	s_delay_alu instid0(VALU_DEP_3) | instskip(NEXT) | instid1(VALU_DEP_3)
	v_mul_f64 v[13:14], v[13:14], s[2:3]
	v_cvt_f32_f64_e32 v11, v[11:12]
	s_delay_alu instid0(VALU_DEP_2) | instskip(SKIP_2) | instid1(VALU_DEP_1)
	v_cvt_f32_f64_e32 v12, v[13:14]
	s_waitcnt vmcnt(0)
	v_mad_u64_u32 v[13:14], null, s4, v17, 0
	v_mov_b32_e32 v9, v14
	s_delay_alu instid0(VALU_DEP_1) | instskip(NEXT) | instid1(VALU_DEP_1)
	v_mad_u64_u32 v[14:15], null, s5, v17, v[9:10]
	v_lshlrev_b64 v[13:14], 3, v[13:14]
	s_delay_alu instid0(VALU_DEP_1) | instskip(NEXT) | instid1(VALU_DEP_1)
	v_add_co_u32 v13, s0, v69, v13
	v_add_co_ci_u32_e64 v14, s0, v70, v14, s0
	global_store_b64 v[0:1], v[6:7], off
	global_store_b64 v[13:14], v[11:12], off
	v_cvt_f64_f32_e32 v[6:7], v61
	v_cvt_f64_f32_e32 v[11:12], v62
	;; [unrolled: 1-line block ×4, first 2 shown]
	s_mul_hi_u32 s0, s4, 0xfffff8a4
	s_delay_alu instid0(SALU_CYCLE_1) | instskip(NEXT) | instid1(SALU_CYCLE_1)
	s_sub_i32 s0, s0, s4
	s_add_i32 s1, s0, s1
	s_mul_i32 s0, s4, 0xfffff8a4
	s_delay_alu instid0(SALU_CYCLE_1) | instskip(NEXT) | instid1(VALU_DEP_4)
	s_lshl_b64 s[8:9], s[0:1], 3
	v_mul_f64 v[6:7], v[6:7], s[2:3]
	s_delay_alu instid0(VALU_DEP_4) | instskip(NEXT) | instid1(VALU_DEP_4)
	v_mul_f64 v[11:12], v[11:12], s[2:3]
	v_mul_f64 v[13:14], v[13:14], s[2:3]
	s_delay_alu instid0(VALU_DEP_4) | instskip(NEXT) | instid1(VALU_DEP_4)
	v_mul_f64 v[4:5], v[4:5], s[2:3]
	v_cvt_f32_f64_e32 v6, v[6:7]
	s_delay_alu instid0(VALU_DEP_4) | instskip(SKIP_2) | instid1(VALU_DEP_2)
	v_cvt_f32_f64_e32 v7, v[11:12]
	v_cvt_f64_f32_e32 v[11:12], v2
	v_cvt_f64_f32_e32 v[2:3], v3
	v_mul_f64 v[11:12], v[11:12], s[2:3]
	s_delay_alu instid0(VALU_DEP_2) | instskip(NEXT) | instid1(VALU_DEP_2)
	v_mul_f64 v[2:3], v[2:3], s[2:3]
	v_cvt_f32_f64_e32 v11, v[11:12]
	v_cvt_f32_f64_e32 v12, v[13:14]
	v_cvt_f64_f32_e32 v[13:14], v34
	s_delay_alu instid0(VALU_DEP_4) | instskip(SKIP_2) | instid1(VALU_DEP_1)
	v_cvt_f32_f64_e32 v2, v[2:3]
	v_cvt_f32_f64_e32 v3, v[4:5]
	v_mad_u64_u32 v[4:5], null, 0xd80, s4, v[0:1]
	v_add_nc_u32_e32 v5, s10, v5
	s_delay_alu instid0(VALU_DEP_2) | instskip(NEXT) | instid1(VALU_DEP_1)
	v_add_co_u32 v0, s0, v4, s8
	v_add_co_ci_u32_e64 v1, s0, s9, v5, s0
	global_store_b64 v[4:5], v[6:7], off
	v_cvt_f64_f32_e32 v[4:5], v42
	v_cvt_f64_f32_e32 v[6:7], v19
	global_store_b64 v[0:1], v[11:12], off
	v_mul_f64 v[13:14], v[13:14], s[2:3]
	v_add_co_u32 v0, s0, v0, s6
	s_delay_alu instid0(VALU_DEP_1)
	v_add_co_ci_u32_e64 v1, s0, s7, v1, s0
	v_cvt_f64_f32_e32 v[11:12], v21
	v_mul_f64 v[4:5], v[4:5], s[2:3]
	v_mul_f64 v[6:7], v[6:7], s[2:3]
	v_cvt_f32_f64_e32 v13, v[13:14]
	v_cvt_f32_f64_e32 v14, v[22:23]
	v_cvt_f64_f32_e32 v[21:22], v48
	v_cvt_f64_f32_e32 v[23:24], v52
	v_mul_f64 v[11:12], v[11:12], s[2:3]
	global_store_b64 v[0:1], v[13:14], off
	v_add_co_u32 v0, s0, v0, s6
	s_delay_alu instid0(VALU_DEP_1)
	v_add_co_ci_u32_e64 v1, s0, s7, v1, s0
	v_cvt_f64_f32_e32 v[13:14], v33
	scratch_load_b32 v33, off, off offset:56 ; 4-byte Folded Reload
	v_mul_f64 v[21:22], v[21:22], s[2:3]
	global_store_b64 v[0:1], v[2:3], off
	v_cvt_f64_f32_e32 v[2:3], v41
	v_add_co_u32 v0, s0, v0, s6
	s_delay_alu instid0(VALU_DEP_1) | instskip(SKIP_3) | instid1(VALU_DEP_1)
	v_add_co_ci_u32_e64 v1, s0, s7, v1, s0
	v_mul_f64 v[23:24], v[23:24], s[2:3]
	v_mul_f64 v[13:14], v[13:14], s[2:3]
	;; [unrolled: 1-line block ×3, first 2 shown]
	v_cvt_f32_f64_e32 v2, v[2:3]
	v_cvt_f32_f64_e32 v3, v[4:5]
	v_cvt_f64_f32_e32 v[4:5], v18
	v_cvt_f64_f32_e32 v[17:18], v40
	global_store_b64 v[0:1], v[2:3], off
	v_mul_f64 v[4:5], v[4:5], s[2:3]
	v_cvt_f64_f32_e32 v[2:3], v49
	v_add_co_u32 v0, s0, v0, s6
	s_delay_alu instid0(VALU_DEP_1)
	v_add_co_ci_u32_e64 v1, s0, s7, v1, s0
	v_mul_f64 v[17:18], v[17:18], s[2:3]
	v_cvt_f32_f64_e32 v4, v[4:5]
	v_cvt_f32_f64_e32 v5, v[6:7]
	v_cvt_f64_f32_e32 v[6:7], v50
	v_mul_f64 v[2:3], v[2:3], s[2:3]
	global_store_b64 v[0:1], v[4:5], off
	v_mul_f64 v[6:7], v[6:7], s[2:3]
	v_cvt_f32_f64_e32 v2, v[2:3]
	v_cvt_f64_f32_e32 v[4:5], v8
	v_cvt_f64_f32_e32 v[8:9], v58
	v_add_co_u32 v0, s0, v0, s6
	s_delay_alu instid0(VALU_DEP_1)
	v_add_co_ci_u32_e64 v1, s0, s7, v1, s0
	v_cvt_f32_f64_e32 v3, v[6:7]
	v_cvt_f64_f32_e32 v[6:7], v16
	v_mul_f64 v[4:5], v[4:5], s[2:3]
	v_mul_f64 v[8:9], v[8:9], s[2:3]
	v_cvt_f64_f32_e32 v[15:16], v37
	global_store_b64 v[0:1], v[2:3], off
	v_mul_f64 v[6:7], v[6:7], s[2:3]
	v_cvt_f32_f64_e32 v4, v[4:5]
	v_cvt_f64_f32_e32 v[2:3], v65
	v_add_co_u32 v0, s0, v0, s6
	s_delay_alu instid0(VALU_DEP_1)
	v_add_co_ci_u32_e64 v1, s0, s7, v1, s0
	v_mul_f64 v[15:16], v[15:16], s[2:3]
	v_cvt_f32_f64_e32 v5, v[6:7]
	v_cvt_f64_f32_e32 v[6:7], v57
	v_mul_f64 v[2:3], v[2:3], s[2:3]
	global_store_b64 v[0:1], v[4:5], off
	v_mul_f64 v[6:7], v[6:7], s[2:3]
	v_cvt_f64_f32_e32 v[4:5], v32
	v_add_co_u32 v0, s0, v0, s6
	s_delay_alu instid0(VALU_DEP_1)
	v_add_co_ci_u32_e64 v1, s0, s7, v1, s0
	v_cvt_f32_f64_e32 v2, v[2:3]
	v_cvt_f64_f32_e32 v[31:32], v68
	v_cvt_f32_f64_e32 v6, v[6:7]
	v_cvt_f32_f64_e32 v7, v[8:9]
	v_cvt_f64_f32_e32 v[8:9], v20
	v_mul_f64 v[4:5], v[4:5], s[2:3]
	v_cvt_f64_f32_e32 v[19:20], v44
	v_mul_f64 v[31:32], v[31:32], s[2:3]
	global_store_b64 v[0:1], v[6:7], off
	v_mul_f64 v[8:9], v[8:9], s[2:3]
	v_cvt_f64_f32_e32 v[6:7], v39
	v_add_co_u32 v0, s0, v0, s6
	s_delay_alu instid0(VALU_DEP_1)
	v_add_co_ci_u32_e64 v1, s0, s7, v1, s0
	v_cvt_f32_f64_e32 v4, v[4:5]
	v_cvt_f32_f64_e32 v5, v[13:14]
	v_cvt_f64_f32_e32 v[13:14], v47
	v_mul_f64 v[19:20], v[19:20], s[2:3]
	v_cvt_f32_f64_e32 v8, v[8:9]
	v_cvt_f32_f64_e32 v9, v[11:12]
	v_cvt_f64_f32_e32 v[11:12], v66
	v_mul_f64 v[6:7], v[6:7], s[2:3]
	v_mul_f64 v[13:14], v[13:14], s[2:3]
	global_store_b64 v[0:1], v[8:9], off
	v_mul_f64 v[11:12], v[11:12], s[2:3]
	v_cvt_f64_f32_e32 v[8:9], v43
	v_add_co_u32 v0, s0, v0, s6
	s_delay_alu instid0(VALU_DEP_1)
	v_add_co_ci_u32_e64 v1, s0, s7, v1, s0
	v_cvt_f32_f64_e32 v6, v[6:7]
	v_cvt_f32_f64_e32 v7, v[17:18]
	v_cvt_f64_f32_e32 v[17:18], v55
	v_cvt_f32_f64_e32 v13, v[13:14]
	v_cvt_f32_f64_e32 v14, v[21:22]
	v_cvt_f64_f32_e32 v[21:22], v67
	v_cvt_f32_f64_e32 v3, v[11:12]
	v_cvt_f64_f32_e32 v[11:12], v36
	v_mul_f64 v[8:9], v[8:9], s[2:3]
	v_mul_f64 v[17:18], v[17:18], s[2:3]
	;; [unrolled: 1-line block ×3, first 2 shown]
	global_store_b64 v[0:1], v[2:3], off
	v_mul_f64 v[11:12], v[11:12], s[2:3]
	v_cvt_f64_f32_e32 v[2:3], v59
	v_cvt_f32_f64_e32 v8, v[8:9]
	v_cvt_f32_f64_e32 v9, v[19:20]
	v_cvt_f64_f32_e32 v[19:20], v63
	v_add_co_u32 v0, s0, v0, s8
	s_delay_alu instid0(VALU_DEP_1) | instskip(SKIP_2) | instid1(VALU_DEP_4)
	v_add_co_ci_u32_e64 v1, s0, s9, v1, s0
	v_cvt_f32_f64_e32 v17, v[17:18]
	v_cvt_f32_f64_e32 v18, v[25:26]
	v_add_co_u32 v25, s0, v0, s6
	s_delay_alu instid0(VALU_DEP_1)
	v_add_co_ci_u32_e64 v26, s0, s7, v1, s0
	v_cvt_f32_f64_e32 v21, v[21:22]
	v_cvt_f32_f64_e32 v22, v[31:32]
	;; [unrolled: 1-line block ×4, first 2 shown]
	v_cvt_f64_f32_e32 v[15:16], v51
	v_mul_f64 v[2:3], v[2:3], s[2:3]
	v_mul_f64 v[19:20], v[19:20], s[2:3]
	s_delay_alu instid0(VALU_DEP_3) | instskip(NEXT) | instid1(VALU_DEP_3)
	v_mul_f64 v[15:16], v[15:16], s[2:3]
	v_cvt_f32_f64_e32 v2, v[2:3]
	v_cvt_f32_f64_e32 v3, v[27:28]
	v_add_co_u32 v27, s0, v25, s6
	s_delay_alu instid0(VALU_DEP_1)
	v_add_co_ci_u32_e64 v28, s0, s7, v26, s0
	v_cvt_f32_f64_e32 v19, v[19:20]
	v_cvt_f32_f64_e32 v20, v[29:30]
	global_store_b64 v[0:1], v[4:5], off
	global_store_b64 v[25:26], v[11:12], off
	;; [unrolled: 1-line block ×3, first 2 shown]
	v_mad_u64_u32 v[29:30], null, 0xd80, s4, v[27:28]
	s_delay_alu instid0(VALU_DEP_1) | instskip(NEXT) | instid1(VALU_DEP_2)
	v_add_nc_u32_e32 v30, s10, v30
	v_add_co_u32 v4, s0, v29, s6
	s_delay_alu instid0(VALU_DEP_1) | instskip(NEXT) | instid1(VALU_DEP_2)
	v_add_co_ci_u32_e64 v5, s0, s7, v30, s0
	v_add_co_u32 v6, s0, v4, s6
	s_delay_alu instid0(VALU_DEP_1) | instskip(SKIP_4) | instid1(VALU_DEP_1)
	v_add_co_ci_u32_e64 v7, s0, s7, v5, s0
	v_cvt_f32_f64_e32 v15, v[15:16]
	v_cvt_f32_f64_e32 v16, v[23:24]
	s_waitcnt vmcnt(0)
	v_mad_u64_u32 v[23:24], null, s4, v33, 0
	v_mad_u64_u32 v[31:32], null, s5, v33, v[24:25]
	s_delay_alu instid0(VALU_DEP_1) | instskip(NEXT) | instid1(VALU_DEP_1)
	v_mov_b32_e32 v24, v31
	v_lshlrev_b64 v[0:1], 3, v[23:24]
	s_delay_alu instid0(VALU_DEP_1) | instskip(NEXT) | instid1(VALU_DEP_1)
	v_add_co_u32 v0, s0, v69, v0
	v_add_co_ci_u32_e64 v1, s0, v70, v1, s0
	v_add_co_u32 v11, s0, v6, s6
	s_delay_alu instid0(VALU_DEP_1) | instskip(SKIP_2) | instid1(VALU_DEP_1)
	v_add_co_ci_u32_e64 v12, s0, s7, v7, s0
	global_store_b64 v[0:1], v[8:9], off
	v_add_co_u32 v8, s0, v11, s6
	v_add_co_ci_u32_e64 v9, s0, s7, v12, s0
	global_store_b64 v[29:30], v[13:14], off
	v_add_co_u32 v0, s0, v8, s6
	s_delay_alu instid0(VALU_DEP_1)
	v_add_co_ci_u32_e64 v1, s0, s7, v9, s0
	global_store_b64 v[4:5], v[15:16], off
	global_store_b64 v[6:7], v[17:18], off
	;; [unrolled: 1-line block ×5, first 2 shown]
	s_and_b32 exec_lo, exec_lo, vcc_lo
	s_cbranch_execz .LBB0_15
; %bb.14:
	scratch_load_b64 v[11:12], off, off offset:36 ; 8-byte Folded Reload
	v_add_nc_u32_e32 v2, 0x500, v255
	v_add_co_u32 v0, vcc_lo, v0, s8
	v_add_co_ci_u32_e32 v1, vcc_lo, s9, v1, vcc_lo
	ds_load_2addr_b64 v[2:5], v2 offset0:20 offset1:236
	s_waitcnt vmcnt(0)
	global_load_b64 v[6:7], v[11:12], off offset:1440
	s_waitcnt vmcnt(0) lgkmcnt(0)
	v_mul_f32_e32 v8, v3, v7
	v_mul_f32_e32 v7, v2, v7
	s_delay_alu instid0(VALU_DEP_2) | instskip(NEXT) | instid1(VALU_DEP_2)
	v_fmac_f32_e32 v8, v2, v6
	v_fma_f32 v6, v6, v3, -v7
	s_delay_alu instid0(VALU_DEP_2) | instskip(NEXT) | instid1(VALU_DEP_2)
	v_cvt_f64_f32_e32 v[2:3], v8
	v_cvt_f64_f32_e32 v[6:7], v6
	s_delay_alu instid0(VALU_DEP_2) | instskip(NEXT) | instid1(VALU_DEP_2)
	v_mul_f64 v[2:3], v[2:3], s[2:3]
	v_mul_f64 v[6:7], v[6:7], s[2:3]
	s_delay_alu instid0(VALU_DEP_2) | instskip(NEXT) | instid1(VALU_DEP_2)
	v_cvt_f32_f64_e32 v2, v[2:3]
	v_cvt_f32_f64_e32 v3, v[6:7]
	global_store_b64 v[0:1], v[2:3], off
	global_load_b64 v[2:3], v[11:12], off offset:3168
	scratch_load_b64 v[11:12], off, off offset:16 ; 8-byte Folded Reload
	s_waitcnt vmcnt(1)
	v_mul_f32_e32 v6, v5, v3
	v_mul_f32_e32 v3, v4, v3
	s_delay_alu instid0(VALU_DEP_2) | instskip(NEXT) | instid1(VALU_DEP_2)
	v_fmac_f32_e32 v6, v4, v2
	v_fma_f32 v4, v2, v5, -v3
	s_delay_alu instid0(VALU_DEP_2) | instskip(NEXT) | instid1(VALU_DEP_2)
	v_cvt_f64_f32_e32 v[2:3], v6
	v_cvt_f64_f32_e32 v[4:5], v4
	s_delay_alu instid0(VALU_DEP_2) | instskip(NEXT) | instid1(VALU_DEP_2)
	v_mul_f64 v[2:3], v[2:3], s[2:3]
	v_mul_f64 v[4:5], v[4:5], s[2:3]
	s_delay_alu instid0(VALU_DEP_2) | instskip(NEXT) | instid1(VALU_DEP_2)
	v_cvt_f32_f64_e32 v2, v[2:3]
	v_cvt_f32_f64_e32 v3, v[4:5]
	v_add_co_u32 v4, vcc_lo, v0, s6
	v_add_co_ci_u32_e32 v5, vcc_lo, s7, v1, vcc_lo
	v_add_nc_u32_e32 v0, 0x1200, v255
	global_store_b64 v[4:5], v[2:3], off
	s_waitcnt vmcnt(0)
	global_load_b64 v[6:7], v[11:12], off offset:800
	ds_load_2addr_b64 v[0:3], v0 offset0:36 offset1:252
	v_add_co_u32 v4, vcc_lo, v4, s6
	v_add_co_ci_u32_e32 v5, vcc_lo, s7, v5, vcc_lo
	s_waitcnt vmcnt(0) lgkmcnt(0)
	v_mul_f32_e32 v8, v1, v7
	v_mul_f32_e32 v7, v0, v7
	s_delay_alu instid0(VALU_DEP_2) | instskip(NEXT) | instid1(VALU_DEP_2)
	v_fmac_f32_e32 v8, v0, v6
	v_fma_f32 v6, v6, v1, -v7
	s_delay_alu instid0(VALU_DEP_2) | instskip(NEXT) | instid1(VALU_DEP_2)
	v_cvt_f64_f32_e32 v[0:1], v8
	v_cvt_f64_f32_e32 v[6:7], v6
	s_delay_alu instid0(VALU_DEP_2) | instskip(NEXT) | instid1(VALU_DEP_2)
	v_mul_f64 v[0:1], v[0:1], s[2:3]
	v_mul_f64 v[6:7], v[6:7], s[2:3]
	s_delay_alu instid0(VALU_DEP_2) | instskip(NEXT) | instid1(VALU_DEP_2)
	v_cvt_f32_f64_e32 v0, v[0:1]
	v_cvt_f32_f64_e32 v1, v[6:7]
	global_store_b64 v[4:5], v[0:1], off
	global_load_b64 v[0:1], v[11:12], off offset:2528
	scratch_load_b64 v[11:12], off, off     ; 8-byte Folded Reload
	v_add_co_u32 v4, vcc_lo, v4, s6
	v_add_co_ci_u32_e32 v5, vcc_lo, s7, v5, vcc_lo
	s_waitcnt vmcnt(1)
	v_mul_f32_e32 v6, v3, v1
	v_mul_f32_e32 v1, v2, v1
	s_delay_alu instid0(VALU_DEP_2) | instskip(NEXT) | instid1(VALU_DEP_2)
	v_fmac_f32_e32 v6, v2, v0
	v_fma_f32 v2, v0, v3, -v1
	s_delay_alu instid0(VALU_DEP_2) | instskip(NEXT) | instid1(VALU_DEP_2)
	v_cvt_f64_f32_e32 v[0:1], v6
	v_cvt_f64_f32_e32 v[2:3], v2
	s_delay_alu instid0(VALU_DEP_2) | instskip(NEXT) | instid1(VALU_DEP_2)
	v_mul_f64 v[0:1], v[0:1], s[2:3]
	v_mul_f64 v[2:3], v[2:3], s[2:3]
	s_delay_alu instid0(VALU_DEP_2) | instskip(NEXT) | instid1(VALU_DEP_2)
	v_cvt_f32_f64_e32 v0, v[0:1]
	v_cvt_f32_f64_e32 v1, v[2:3]
	global_store_b64 v[4:5], v[0:1], off
	s_waitcnt vmcnt(0)
	global_load_b64 v[6:7], v[11:12], off offset:160
	ds_load_2addr_b64 v[0:3], v10 offset0:20 offset1:236
	v_add_co_u32 v4, vcc_lo, v4, s6
	v_add_co_ci_u32_e32 v5, vcc_lo, s7, v5, vcc_lo
	s_waitcnt vmcnt(0) lgkmcnt(0)
	v_mul_f32_e32 v8, v1, v7
	v_mul_f32_e32 v7, v0, v7
	s_delay_alu instid0(VALU_DEP_2) | instskip(NEXT) | instid1(VALU_DEP_2)
	v_fmac_f32_e32 v8, v0, v6
	v_fma_f32 v6, v6, v1, -v7
	s_delay_alu instid0(VALU_DEP_2) | instskip(NEXT) | instid1(VALU_DEP_2)
	v_cvt_f64_f32_e32 v[0:1], v8
	v_cvt_f64_f32_e32 v[6:7], v6
	s_delay_alu instid0(VALU_DEP_2) | instskip(NEXT) | instid1(VALU_DEP_2)
	v_mul_f64 v[0:1], v[0:1], s[2:3]
	v_mul_f64 v[6:7], v[6:7], s[2:3]
	s_delay_alu instid0(VALU_DEP_2) | instskip(NEXT) | instid1(VALU_DEP_2)
	v_cvt_f32_f64_e32 v0, v[0:1]
	v_cvt_f32_f64_e32 v1, v[6:7]
	global_store_b64 v[4:5], v[0:1], off
	global_load_b64 v[0:1], v[11:12], off offset:1888
	v_add_co_u32 v4, vcc_lo, v4, s6
	v_add_co_ci_u32_e32 v5, vcc_lo, s7, v5, vcc_lo
	s_waitcnt vmcnt(0)
	v_mul_f32_e32 v6, v3, v1
	v_mul_f32_e32 v1, v2, v1
	s_delay_alu instid0(VALU_DEP_2) | instskip(NEXT) | instid1(VALU_DEP_2)
	v_fmac_f32_e32 v6, v2, v0
	v_fma_f32 v2, v0, v3, -v1
	s_delay_alu instid0(VALU_DEP_2) | instskip(NEXT) | instid1(VALU_DEP_2)
	v_cvt_f64_f32_e32 v[0:1], v6
	v_cvt_f64_f32_e32 v[2:3], v2
	s_delay_alu instid0(VALU_DEP_2) | instskip(NEXT) | instid1(VALU_DEP_2)
	v_mul_f64 v[0:1], v[0:1], s[2:3]
	v_mul_f64 v[2:3], v[2:3], s[2:3]
	s_delay_alu instid0(VALU_DEP_2) | instskip(NEXT) | instid1(VALU_DEP_2)
	v_cvt_f32_f64_e32 v0, v[0:1]
	v_cvt_f32_f64_e32 v1, v[2:3]
	global_store_b64 v[4:5], v[0:1], off
	global_load_b64 v[6:7], v[11:12], off offset:3616
	v_add_nc_u32_e32 v0, 0x2e00, v255
	v_add_co_u32 v4, vcc_lo, v4, s6
	v_add_co_ci_u32_e32 v5, vcc_lo, s7, v5, vcc_lo
	ds_load_2addr_b64 v[0:3], v0 offset0:4 offset1:220
	s_waitcnt vmcnt(0) lgkmcnt(0)
	v_mul_f32_e32 v8, v1, v7
	v_mul_f32_e32 v7, v0, v7
	s_delay_alu instid0(VALU_DEP_2) | instskip(NEXT) | instid1(VALU_DEP_2)
	v_fmac_f32_e32 v8, v0, v6
	v_fma_f32 v6, v6, v1, -v7
	s_delay_alu instid0(VALU_DEP_2) | instskip(NEXT) | instid1(VALU_DEP_2)
	v_cvt_f64_f32_e32 v[0:1], v8
	v_cvt_f64_f32_e32 v[6:7], v6
	s_delay_alu instid0(VALU_DEP_2) | instskip(NEXT) | instid1(VALU_DEP_2)
	v_mul_f64 v[0:1], v[0:1], s[2:3]
	v_mul_f64 v[6:7], v[6:7], s[2:3]
	s_delay_alu instid0(VALU_DEP_2) | instskip(NEXT) | instid1(VALU_DEP_2)
	v_cvt_f32_f64_e32 v0, v[0:1]
	v_cvt_f32_f64_e32 v1, v[6:7]
	scratch_load_b64 v[7:8], off, off offset:8 ; 8-byte Folded Reload
	global_store_b64 v[4:5], v[0:1], off
	v_add_co_u32 v4, vcc_lo, v4, s6
	v_add_co_ci_u32_e32 v5, vcc_lo, s7, v5, vcc_lo
	s_waitcnt vmcnt(0)
	global_load_b64 v[0:1], v[7:8], off offset:1248
	s_waitcnt vmcnt(0)
	v_mul_f32_e32 v6, v3, v1
	v_mul_f32_e32 v1, v2, v1
	s_delay_alu instid0(VALU_DEP_2) | instskip(NEXT) | instid1(VALU_DEP_2)
	v_fmac_f32_e32 v6, v2, v0
	v_fma_f32 v2, v0, v3, -v1
	s_delay_alu instid0(VALU_DEP_2) | instskip(NEXT) | instid1(VALU_DEP_2)
	v_cvt_f64_f32_e32 v[0:1], v6
	v_cvt_f64_f32_e32 v[2:3], v2
	s_delay_alu instid0(VALU_DEP_2) | instskip(NEXT) | instid1(VALU_DEP_2)
	v_mul_f64 v[0:1], v[0:1], s[2:3]
	v_mul_f64 v[2:3], v[2:3], s[2:3]
	s_delay_alu instid0(VALU_DEP_2) | instskip(NEXT) | instid1(VALU_DEP_2)
	v_cvt_f32_f64_e32 v0, v[0:1]
	v_cvt_f32_f64_e32 v1, v[2:3]
	global_store_b64 v[4:5], v[0:1], off
	global_load_b64 v[6:7], v[7:8], off offset:2976
	v_add_nc_u32_e32 v0, 0x3b00, v255
	v_add_co_u32 v4, vcc_lo, v4, s6
	v_add_co_ci_u32_e32 v5, vcc_lo, s7, v5, vcc_lo
	ds_load_2addr_b64 v[0:3], v0 offset0:20 offset1:236
	s_waitcnt vmcnt(0) lgkmcnt(0)
	v_mul_f32_e32 v8, v1, v7
	v_mul_f32_e32 v7, v0, v7
	s_delay_alu instid0(VALU_DEP_2) | instskip(NEXT) | instid1(VALU_DEP_2)
	v_fmac_f32_e32 v8, v0, v6
	v_fma_f32 v6, v6, v1, -v7
	s_delay_alu instid0(VALU_DEP_2) | instskip(NEXT) | instid1(VALU_DEP_2)
	v_cvt_f64_f32_e32 v[0:1], v8
	v_cvt_f64_f32_e32 v[6:7], v6
	s_delay_alu instid0(VALU_DEP_2) | instskip(NEXT) | instid1(VALU_DEP_2)
	v_mul_f64 v[0:1], v[0:1], s[2:3]
	v_mul_f64 v[6:7], v[6:7], s[2:3]
	s_delay_alu instid0(VALU_DEP_2) | instskip(NEXT) | instid1(VALU_DEP_2)
	v_cvt_f32_f64_e32 v0, v[0:1]
	v_cvt_f32_f64_e32 v1, v[6:7]
	global_store_b64 v[4:5], v[0:1], off
	scratch_load_b64 v[0:1], off, off offset:44 ; 8-byte Folded Reload
	s_waitcnt vmcnt(0)
	global_load_b64 v[0:1], v[0:1], off offset:608
	s_waitcnt vmcnt(0)
	v_mul_f32_e32 v6, v3, v1
	v_mul_f32_e32 v1, v2, v1
	s_delay_alu instid0(VALU_DEP_2) | instskip(NEXT) | instid1(VALU_DEP_2)
	v_fmac_f32_e32 v6, v2, v0
	v_fma_f32 v2, v0, v3, -v1
	s_delay_alu instid0(VALU_DEP_2) | instskip(NEXT) | instid1(VALU_DEP_2)
	v_cvt_f64_f32_e32 v[0:1], v6
	v_cvt_f64_f32_e32 v[2:3], v2
	s_delay_alu instid0(VALU_DEP_2) | instskip(NEXT) | instid1(VALU_DEP_2)
	v_mul_f64 v[0:1], v[0:1], s[2:3]
	v_mul_f64 v[2:3], v[2:3], s[2:3]
	s_delay_alu instid0(VALU_DEP_2) | instskip(NEXT) | instid1(VALU_DEP_2)
	v_cvt_f32_f64_e32 v0, v[0:1]
	v_cvt_f32_f64_e32 v1, v[2:3]
	v_add_co_u32 v2, vcc_lo, v4, s6
	v_add_co_ci_u32_e32 v3, vcc_lo, s7, v5, vcc_lo
	global_store_b64 v[2:3], v[0:1], off
.LBB0_15:
	s_nop 0
	s_sendmsg sendmsg(MSG_DEALLOC_VGPRS)
	s_endpgm
	.section	.rodata,"a",@progbits
	.p2align	6, 0x0
	.amdhsa_kernel bluestein_single_back_len2160_dim1_sp_op_CI_CI
		.amdhsa_group_segment_fixed_size 17280
		.amdhsa_private_segment_fixed_size 456
		.amdhsa_kernarg_size 104
		.amdhsa_user_sgpr_count 15
		.amdhsa_user_sgpr_dispatch_ptr 0
		.amdhsa_user_sgpr_queue_ptr 0
		.amdhsa_user_sgpr_kernarg_segment_ptr 1
		.amdhsa_user_sgpr_dispatch_id 0
		.amdhsa_user_sgpr_private_segment_size 0
		.amdhsa_wavefront_size32 1
		.amdhsa_uses_dynamic_stack 0
		.amdhsa_enable_private_segment 1
		.amdhsa_system_sgpr_workgroup_id_x 1
		.amdhsa_system_sgpr_workgroup_id_y 0
		.amdhsa_system_sgpr_workgroup_id_z 0
		.amdhsa_system_sgpr_workgroup_info 0
		.amdhsa_system_vgpr_workitem_id 0
		.amdhsa_next_free_vgpr 256
		.amdhsa_next_free_sgpr 18
		.amdhsa_reserve_vcc 1
		.amdhsa_float_round_mode_32 0
		.amdhsa_float_round_mode_16_64 0
		.amdhsa_float_denorm_mode_32 3
		.amdhsa_float_denorm_mode_16_64 3
		.amdhsa_dx10_clamp 1
		.amdhsa_ieee_mode 1
		.amdhsa_fp16_overflow 0
		.amdhsa_workgroup_processor_mode 1
		.amdhsa_memory_ordered 1
		.amdhsa_forward_progress 0
		.amdhsa_shared_vgpr_count 0
		.amdhsa_exception_fp_ieee_invalid_op 0
		.amdhsa_exception_fp_denorm_src 0
		.amdhsa_exception_fp_ieee_div_zero 0
		.amdhsa_exception_fp_ieee_overflow 0
		.amdhsa_exception_fp_ieee_underflow 0
		.amdhsa_exception_fp_ieee_inexact 0
		.amdhsa_exception_int_div_zero 0
	.end_amdhsa_kernel
	.text
.Lfunc_end0:
	.size	bluestein_single_back_len2160_dim1_sp_op_CI_CI, .Lfunc_end0-bluestein_single_back_len2160_dim1_sp_op_CI_CI
                                        ; -- End function
	.section	.AMDGPU.csdata,"",@progbits
; Kernel info:
; codeLenInByte = 37304
; NumSgprs: 20
; NumVgprs: 256
; ScratchSize: 456
; MemoryBound: 0
; FloatMode: 240
; IeeeMode: 1
; LDSByteSize: 17280 bytes/workgroup (compile time only)
; SGPRBlocks: 2
; VGPRBlocks: 31
; NumSGPRsForWavesPerEU: 20
; NumVGPRsForWavesPerEU: 256
; Occupancy: 4
; WaveLimiterHint : 1
; COMPUTE_PGM_RSRC2:SCRATCH_EN: 1
; COMPUTE_PGM_RSRC2:USER_SGPR: 15
; COMPUTE_PGM_RSRC2:TRAP_HANDLER: 0
; COMPUTE_PGM_RSRC2:TGID_X_EN: 1
; COMPUTE_PGM_RSRC2:TGID_Y_EN: 0
; COMPUTE_PGM_RSRC2:TGID_Z_EN: 0
; COMPUTE_PGM_RSRC2:TIDIG_COMP_CNT: 0
	.text
	.p2alignl 7, 3214868480
	.fill 96, 4, 3214868480
	.type	__hip_cuid_c3448a20e24fb952,@object ; @__hip_cuid_c3448a20e24fb952
	.section	.bss,"aw",@nobits
	.globl	__hip_cuid_c3448a20e24fb952
__hip_cuid_c3448a20e24fb952:
	.byte	0                               ; 0x0
	.size	__hip_cuid_c3448a20e24fb952, 1

	.ident	"AMD clang version 19.0.0git (https://github.com/RadeonOpenCompute/llvm-project roc-6.4.0 25133 c7fe45cf4b819c5991fe208aaa96edf142730f1d)"
	.section	".note.GNU-stack","",@progbits
	.addrsig
	.addrsig_sym __hip_cuid_c3448a20e24fb952
	.amdgpu_metadata
---
amdhsa.kernels:
  - .args:
      - .actual_access:  read_only
        .address_space:  global
        .offset:         0
        .size:           8
        .value_kind:     global_buffer
      - .actual_access:  read_only
        .address_space:  global
        .offset:         8
        .size:           8
        .value_kind:     global_buffer
      - .actual_access:  read_only
        .address_space:  global
        .offset:         16
        .size:           8
        .value_kind:     global_buffer
      - .actual_access:  read_only
        .address_space:  global
        .offset:         24
        .size:           8
        .value_kind:     global_buffer
      - .actual_access:  read_only
        .address_space:  global
        .offset:         32
        .size:           8
        .value_kind:     global_buffer
      - .offset:         40
        .size:           8
        .value_kind:     by_value
      - .address_space:  global
        .offset:         48
        .size:           8
        .value_kind:     global_buffer
      - .address_space:  global
        .offset:         56
        .size:           8
        .value_kind:     global_buffer
      - .address_space:  global
        .offset:         64
        .size:           8
        .value_kind:     global_buffer
      - .address_space:  global
        .offset:         72
        .size:           8
        .value_kind:     global_buffer
      - .offset:         80
        .size:           4
        .value_kind:     by_value
      - .address_space:  global
        .offset:         88
        .size:           8
        .value_kind:     global_buffer
      - .address_space:  global
        .offset:         96
        .size:           8
        .value_kind:     global_buffer
    .group_segment_fixed_size: 17280
    .kernarg_segment_align: 8
    .kernarg_segment_size: 104
    .language:       OpenCL C
    .language_version:
      - 2
      - 0
    .max_flat_workgroup_size: 60
    .name:           bluestein_single_back_len2160_dim1_sp_op_CI_CI
    .private_segment_fixed_size: 456
    .sgpr_count:     20
    .sgpr_spill_count: 0
    .symbol:         bluestein_single_back_len2160_dim1_sp_op_CI_CI.kd
    .uniform_work_group_size: 1
    .uses_dynamic_stack: false
    .vgpr_count:     256
    .vgpr_spill_count: 113
    .wavefront_size: 32
    .workgroup_processor_mode: 1
amdhsa.target:   amdgcn-amd-amdhsa--gfx1100
amdhsa.version:
  - 1
  - 2
...

	.end_amdgpu_metadata
